;; amdgpu-corpus repo=ROCm/rocThrust kind=compiled arch=gfx1100 opt=O3
	.text
	.amdgcn_target "amdgcn-amd-amdhsa--gfx1100"
	.amdhsa_code_object_version 6
	.section	.text._ZN6thrust23THRUST_200600_302600_NS11hip_rocprim14__parallel_for6kernelILj256ENS1_20__uninitialized_fill7functorINS0_10device_ptrIfEEfEEmLj1EEEvT0_T1_SA_,"axG",@progbits,_ZN6thrust23THRUST_200600_302600_NS11hip_rocprim14__parallel_for6kernelILj256ENS1_20__uninitialized_fill7functorINS0_10device_ptrIfEEfEEmLj1EEEvT0_T1_SA_,comdat
	.protected	_ZN6thrust23THRUST_200600_302600_NS11hip_rocprim14__parallel_for6kernelILj256ENS1_20__uninitialized_fill7functorINS0_10device_ptrIfEEfEEmLj1EEEvT0_T1_SA_ ; -- Begin function _ZN6thrust23THRUST_200600_302600_NS11hip_rocprim14__parallel_for6kernelILj256ENS1_20__uninitialized_fill7functorINS0_10device_ptrIfEEfEEmLj1EEEvT0_T1_SA_
	.globl	_ZN6thrust23THRUST_200600_302600_NS11hip_rocprim14__parallel_for6kernelILj256ENS1_20__uninitialized_fill7functorINS0_10device_ptrIfEEfEEmLj1EEEvT0_T1_SA_
	.p2align	8
	.type	_ZN6thrust23THRUST_200600_302600_NS11hip_rocprim14__parallel_for6kernelILj256ENS1_20__uninitialized_fill7functorINS0_10device_ptrIfEEfEEmLj1EEEvT0_T1_SA_,@function
_ZN6thrust23THRUST_200600_302600_NS11hip_rocprim14__parallel_for6kernelILj256ENS1_20__uninitialized_fill7functorINS0_10device_ptrIfEEfEEmLj1EEEvT0_T1_SA_: ; @_ZN6thrust23THRUST_200600_302600_NS11hip_rocprim14__parallel_for6kernelILj256ENS1_20__uninitialized_fill7functorINS0_10device_ptrIfEEfEEmLj1EEEvT0_T1_SA_
; %bb.0:
	s_load_b128 s[4:7], s[0:1], 0x10
	s_lshl_b32 s2, s15, 8
	s_waitcnt lgkmcnt(0)
	s_add_u32 s2, s2, s6
	s_addc_u32 s3, 0, s7
	s_sub_u32 s4, s4, s2
	s_subb_u32 s5, s5, s3
	s_delay_alu instid0(SALU_CYCLE_1) | instskip(NEXT) | instid1(VALU_DEP_1)
	v_cmp_gt_u64_e64 s5, 0x100, s[4:5]
	s_and_b32 vcc_lo, exec_lo, s5
	s_mov_b32 s5, 0
	s_cbranch_vccz .LBB0_2
; %bb.1:
	v_cmp_gt_u32_e32 vcc_lo, s4, v0
	s_and_b32 s5, vcc_lo, exec_lo
	s_cbranch_execz .LBB0_3
	s_branch .LBB0_4
.LBB0_2:
.LBB0_3:
	s_or_b32 s5, s5, exec_lo
.LBB0_4:
	s_delay_alu instid0(SALU_CYCLE_1)
	s_and_saveexec_b32 s4, s5
	s_cbranch_execnz .LBB0_6
; %bb.5:
	s_endpgm
.LBB0_6:
	s_clause 0x1
	s_load_b64 s[4:5], s[0:1], 0x0
	s_load_b32 s6, s[0:1], 0x8
	v_mov_b32_e32 v1, 0
	s_lshl_b64 s[0:1], s[2:3], 2
	s_waitcnt lgkmcnt(0)
	s_add_u32 s0, s4, s0
	v_mov_b32_e32 v2, s6
	v_lshlrev_b64 v[0:1], 2, v[0:1]
	s_addc_u32 s1, s5, s1
	s_delay_alu instid0(VALU_DEP_1) | instskip(NEXT) | instid1(VALU_DEP_2)
	v_add_co_u32 v0, vcc_lo, s0, v0
	v_add_co_ci_u32_e32 v1, vcc_lo, s1, v1, vcc_lo
	flat_store_b32 v[0:1], v2
	s_endpgm
	.section	.rodata,"a",@progbits
	.p2align	6, 0x0
	.amdhsa_kernel _ZN6thrust23THRUST_200600_302600_NS11hip_rocprim14__parallel_for6kernelILj256ENS1_20__uninitialized_fill7functorINS0_10device_ptrIfEEfEEmLj1EEEvT0_T1_SA_
		.amdhsa_group_segment_fixed_size 0
		.amdhsa_private_segment_fixed_size 0
		.amdhsa_kernarg_size 32
		.amdhsa_user_sgpr_count 15
		.amdhsa_user_sgpr_dispatch_ptr 0
		.amdhsa_user_sgpr_queue_ptr 0
		.amdhsa_user_sgpr_kernarg_segment_ptr 1
		.amdhsa_user_sgpr_dispatch_id 0
		.amdhsa_user_sgpr_private_segment_size 0
		.amdhsa_wavefront_size32 1
		.amdhsa_uses_dynamic_stack 0
		.amdhsa_enable_private_segment 0
		.amdhsa_system_sgpr_workgroup_id_x 1
		.amdhsa_system_sgpr_workgroup_id_y 0
		.amdhsa_system_sgpr_workgroup_id_z 0
		.amdhsa_system_sgpr_workgroup_info 0
		.amdhsa_system_vgpr_workitem_id 0
		.amdhsa_next_free_vgpr 3
		.amdhsa_next_free_sgpr 16
		.amdhsa_reserve_vcc 1
		.amdhsa_float_round_mode_32 0
		.amdhsa_float_round_mode_16_64 0
		.amdhsa_float_denorm_mode_32 3
		.amdhsa_float_denorm_mode_16_64 3
		.amdhsa_dx10_clamp 1
		.amdhsa_ieee_mode 1
		.amdhsa_fp16_overflow 0
		.amdhsa_workgroup_processor_mode 1
		.amdhsa_memory_ordered 1
		.amdhsa_forward_progress 0
		.amdhsa_shared_vgpr_count 0
		.amdhsa_exception_fp_ieee_invalid_op 0
		.amdhsa_exception_fp_denorm_src 0
		.amdhsa_exception_fp_ieee_div_zero 0
		.amdhsa_exception_fp_ieee_overflow 0
		.amdhsa_exception_fp_ieee_underflow 0
		.amdhsa_exception_fp_ieee_inexact 0
		.amdhsa_exception_int_div_zero 0
	.end_amdhsa_kernel
	.section	.text._ZN6thrust23THRUST_200600_302600_NS11hip_rocprim14__parallel_for6kernelILj256ENS1_20__uninitialized_fill7functorINS0_10device_ptrIfEEfEEmLj1EEEvT0_T1_SA_,"axG",@progbits,_ZN6thrust23THRUST_200600_302600_NS11hip_rocprim14__parallel_for6kernelILj256ENS1_20__uninitialized_fill7functorINS0_10device_ptrIfEEfEEmLj1EEEvT0_T1_SA_,comdat
.Lfunc_end0:
	.size	_ZN6thrust23THRUST_200600_302600_NS11hip_rocprim14__parallel_for6kernelILj256ENS1_20__uninitialized_fill7functorINS0_10device_ptrIfEEfEEmLj1EEEvT0_T1_SA_, .Lfunc_end0-_ZN6thrust23THRUST_200600_302600_NS11hip_rocprim14__parallel_for6kernelILj256ENS1_20__uninitialized_fill7functorINS0_10device_ptrIfEEfEEmLj1EEEvT0_T1_SA_
                                        ; -- End function
	.section	.AMDGPU.csdata,"",@progbits
; Kernel info:
; codeLenInByte = 176
; NumSgprs: 18
; NumVgprs: 3
; ScratchSize: 0
; MemoryBound: 0
; FloatMode: 240
; IeeeMode: 1
; LDSByteSize: 0 bytes/workgroup (compile time only)
; SGPRBlocks: 2
; VGPRBlocks: 0
; NumSGPRsForWavesPerEU: 18
; NumVGPRsForWavesPerEU: 3
; Occupancy: 16
; WaveLimiterHint : 0
; COMPUTE_PGM_RSRC2:SCRATCH_EN: 0
; COMPUTE_PGM_RSRC2:USER_SGPR: 15
; COMPUTE_PGM_RSRC2:TRAP_HANDLER: 0
; COMPUTE_PGM_RSRC2:TGID_X_EN: 1
; COMPUTE_PGM_RSRC2:TGID_Y_EN: 0
; COMPUTE_PGM_RSRC2:TGID_Z_EN: 0
; COMPUTE_PGM_RSRC2:TIDIG_COMP_CNT: 0
	.section	.text._ZN7rocprim17ROCPRIM_400000_NS6detail17trampoline_kernelINS0_14default_configENS1_22reduce_config_selectorIN6thrust23THRUST_200600_302600_NS5tupleIbffNS6_9null_typeES8_S8_S8_S8_S8_S8_EEEEZNS1_11reduce_implILb1ES3_PS9_SC_S9_12reduce_tupleIifEEE10hipError_tPvRmT1_T2_T3_mT4_P12ihipStream_tbEUlT_E0_NS1_11comp_targetILNS1_3genE0ELNS1_11target_archE4294967295ELNS1_3gpuE0ELNS1_3repE0EEENS1_30default_config_static_selectorELNS0_4arch9wavefront6targetE0EEEvSI_,"axG",@progbits,_ZN7rocprim17ROCPRIM_400000_NS6detail17trampoline_kernelINS0_14default_configENS1_22reduce_config_selectorIN6thrust23THRUST_200600_302600_NS5tupleIbffNS6_9null_typeES8_S8_S8_S8_S8_S8_EEEEZNS1_11reduce_implILb1ES3_PS9_SC_S9_12reduce_tupleIifEEE10hipError_tPvRmT1_T2_T3_mT4_P12ihipStream_tbEUlT_E0_NS1_11comp_targetILNS1_3genE0ELNS1_11target_archE4294967295ELNS1_3gpuE0ELNS1_3repE0EEENS1_30default_config_static_selectorELNS0_4arch9wavefront6targetE0EEEvSI_,comdat
	.protected	_ZN7rocprim17ROCPRIM_400000_NS6detail17trampoline_kernelINS0_14default_configENS1_22reduce_config_selectorIN6thrust23THRUST_200600_302600_NS5tupleIbffNS6_9null_typeES8_S8_S8_S8_S8_S8_EEEEZNS1_11reduce_implILb1ES3_PS9_SC_S9_12reduce_tupleIifEEE10hipError_tPvRmT1_T2_T3_mT4_P12ihipStream_tbEUlT_E0_NS1_11comp_targetILNS1_3genE0ELNS1_11target_archE4294967295ELNS1_3gpuE0ELNS1_3repE0EEENS1_30default_config_static_selectorELNS0_4arch9wavefront6targetE0EEEvSI_ ; -- Begin function _ZN7rocprim17ROCPRIM_400000_NS6detail17trampoline_kernelINS0_14default_configENS1_22reduce_config_selectorIN6thrust23THRUST_200600_302600_NS5tupleIbffNS6_9null_typeES8_S8_S8_S8_S8_S8_EEEEZNS1_11reduce_implILb1ES3_PS9_SC_S9_12reduce_tupleIifEEE10hipError_tPvRmT1_T2_T3_mT4_P12ihipStream_tbEUlT_E0_NS1_11comp_targetILNS1_3genE0ELNS1_11target_archE4294967295ELNS1_3gpuE0ELNS1_3repE0EEENS1_30default_config_static_selectorELNS0_4arch9wavefront6targetE0EEEvSI_
	.globl	_ZN7rocprim17ROCPRIM_400000_NS6detail17trampoline_kernelINS0_14default_configENS1_22reduce_config_selectorIN6thrust23THRUST_200600_302600_NS5tupleIbffNS6_9null_typeES8_S8_S8_S8_S8_S8_EEEEZNS1_11reduce_implILb1ES3_PS9_SC_S9_12reduce_tupleIifEEE10hipError_tPvRmT1_T2_T3_mT4_P12ihipStream_tbEUlT_E0_NS1_11comp_targetILNS1_3genE0ELNS1_11target_archE4294967295ELNS1_3gpuE0ELNS1_3repE0EEENS1_30default_config_static_selectorELNS0_4arch9wavefront6targetE0EEEvSI_
	.p2align	8
	.type	_ZN7rocprim17ROCPRIM_400000_NS6detail17trampoline_kernelINS0_14default_configENS1_22reduce_config_selectorIN6thrust23THRUST_200600_302600_NS5tupleIbffNS6_9null_typeES8_S8_S8_S8_S8_S8_EEEEZNS1_11reduce_implILb1ES3_PS9_SC_S9_12reduce_tupleIifEEE10hipError_tPvRmT1_T2_T3_mT4_P12ihipStream_tbEUlT_E0_NS1_11comp_targetILNS1_3genE0ELNS1_11target_archE4294967295ELNS1_3gpuE0ELNS1_3repE0EEENS1_30default_config_static_selectorELNS0_4arch9wavefront6targetE0EEEvSI_,@function
_ZN7rocprim17ROCPRIM_400000_NS6detail17trampoline_kernelINS0_14default_configENS1_22reduce_config_selectorIN6thrust23THRUST_200600_302600_NS5tupleIbffNS6_9null_typeES8_S8_S8_S8_S8_S8_EEEEZNS1_11reduce_implILb1ES3_PS9_SC_S9_12reduce_tupleIifEEE10hipError_tPvRmT1_T2_T3_mT4_P12ihipStream_tbEUlT_E0_NS1_11comp_targetILNS1_3genE0ELNS1_11target_archE4294967295ELNS1_3gpuE0ELNS1_3repE0EEENS1_30default_config_static_selectorELNS0_4arch9wavefront6targetE0EEEvSI_: ; @_ZN7rocprim17ROCPRIM_400000_NS6detail17trampoline_kernelINS0_14default_configENS1_22reduce_config_selectorIN6thrust23THRUST_200600_302600_NS5tupleIbffNS6_9null_typeES8_S8_S8_S8_S8_S8_EEEEZNS1_11reduce_implILb1ES3_PS9_SC_S9_12reduce_tupleIifEEE10hipError_tPvRmT1_T2_T3_mT4_P12ihipStream_tbEUlT_E0_NS1_11comp_targetILNS1_3genE0ELNS1_11target_archE4294967295ELNS1_3gpuE0ELNS1_3repE0EEENS1_30default_config_static_selectorELNS0_4arch9wavefront6targetE0EEEvSI_
; %bb.0:
	.section	.rodata,"a",@progbits
	.p2align	6, 0x0
	.amdhsa_kernel _ZN7rocprim17ROCPRIM_400000_NS6detail17trampoline_kernelINS0_14default_configENS1_22reduce_config_selectorIN6thrust23THRUST_200600_302600_NS5tupleIbffNS6_9null_typeES8_S8_S8_S8_S8_S8_EEEEZNS1_11reduce_implILb1ES3_PS9_SC_S9_12reduce_tupleIifEEE10hipError_tPvRmT1_T2_T3_mT4_P12ihipStream_tbEUlT_E0_NS1_11comp_targetILNS1_3genE0ELNS1_11target_archE4294967295ELNS1_3gpuE0ELNS1_3repE0EEENS1_30default_config_static_selectorELNS0_4arch9wavefront6targetE0EEEvSI_
		.amdhsa_group_segment_fixed_size 0
		.amdhsa_private_segment_fixed_size 0
		.amdhsa_kernarg_size 64
		.amdhsa_user_sgpr_count 15
		.amdhsa_user_sgpr_dispatch_ptr 0
		.amdhsa_user_sgpr_queue_ptr 0
		.amdhsa_user_sgpr_kernarg_segment_ptr 1
		.amdhsa_user_sgpr_dispatch_id 0
		.amdhsa_user_sgpr_private_segment_size 0
		.amdhsa_wavefront_size32 1
		.amdhsa_uses_dynamic_stack 0
		.amdhsa_enable_private_segment 0
		.amdhsa_system_sgpr_workgroup_id_x 1
		.amdhsa_system_sgpr_workgroup_id_y 0
		.amdhsa_system_sgpr_workgroup_id_z 0
		.amdhsa_system_sgpr_workgroup_info 0
		.amdhsa_system_vgpr_workitem_id 0
		.amdhsa_next_free_vgpr 1
		.amdhsa_next_free_sgpr 1
		.amdhsa_reserve_vcc 0
		.amdhsa_float_round_mode_32 0
		.amdhsa_float_round_mode_16_64 0
		.amdhsa_float_denorm_mode_32 3
		.amdhsa_float_denorm_mode_16_64 3
		.amdhsa_dx10_clamp 1
		.amdhsa_ieee_mode 1
		.amdhsa_fp16_overflow 0
		.amdhsa_workgroup_processor_mode 1
		.amdhsa_memory_ordered 1
		.amdhsa_forward_progress 0
		.amdhsa_shared_vgpr_count 0
		.amdhsa_exception_fp_ieee_invalid_op 0
		.amdhsa_exception_fp_denorm_src 0
		.amdhsa_exception_fp_ieee_div_zero 0
		.amdhsa_exception_fp_ieee_overflow 0
		.amdhsa_exception_fp_ieee_underflow 0
		.amdhsa_exception_fp_ieee_inexact 0
		.amdhsa_exception_int_div_zero 0
	.end_amdhsa_kernel
	.section	.text._ZN7rocprim17ROCPRIM_400000_NS6detail17trampoline_kernelINS0_14default_configENS1_22reduce_config_selectorIN6thrust23THRUST_200600_302600_NS5tupleIbffNS6_9null_typeES8_S8_S8_S8_S8_S8_EEEEZNS1_11reduce_implILb1ES3_PS9_SC_S9_12reduce_tupleIifEEE10hipError_tPvRmT1_T2_T3_mT4_P12ihipStream_tbEUlT_E0_NS1_11comp_targetILNS1_3genE0ELNS1_11target_archE4294967295ELNS1_3gpuE0ELNS1_3repE0EEENS1_30default_config_static_selectorELNS0_4arch9wavefront6targetE0EEEvSI_,"axG",@progbits,_ZN7rocprim17ROCPRIM_400000_NS6detail17trampoline_kernelINS0_14default_configENS1_22reduce_config_selectorIN6thrust23THRUST_200600_302600_NS5tupleIbffNS6_9null_typeES8_S8_S8_S8_S8_S8_EEEEZNS1_11reduce_implILb1ES3_PS9_SC_S9_12reduce_tupleIifEEE10hipError_tPvRmT1_T2_T3_mT4_P12ihipStream_tbEUlT_E0_NS1_11comp_targetILNS1_3genE0ELNS1_11target_archE4294967295ELNS1_3gpuE0ELNS1_3repE0EEENS1_30default_config_static_selectorELNS0_4arch9wavefront6targetE0EEEvSI_,comdat
.Lfunc_end1:
	.size	_ZN7rocprim17ROCPRIM_400000_NS6detail17trampoline_kernelINS0_14default_configENS1_22reduce_config_selectorIN6thrust23THRUST_200600_302600_NS5tupleIbffNS6_9null_typeES8_S8_S8_S8_S8_S8_EEEEZNS1_11reduce_implILb1ES3_PS9_SC_S9_12reduce_tupleIifEEE10hipError_tPvRmT1_T2_T3_mT4_P12ihipStream_tbEUlT_E0_NS1_11comp_targetILNS1_3genE0ELNS1_11target_archE4294967295ELNS1_3gpuE0ELNS1_3repE0EEENS1_30default_config_static_selectorELNS0_4arch9wavefront6targetE0EEEvSI_, .Lfunc_end1-_ZN7rocprim17ROCPRIM_400000_NS6detail17trampoline_kernelINS0_14default_configENS1_22reduce_config_selectorIN6thrust23THRUST_200600_302600_NS5tupleIbffNS6_9null_typeES8_S8_S8_S8_S8_S8_EEEEZNS1_11reduce_implILb1ES3_PS9_SC_S9_12reduce_tupleIifEEE10hipError_tPvRmT1_T2_T3_mT4_P12ihipStream_tbEUlT_E0_NS1_11comp_targetILNS1_3genE0ELNS1_11target_archE4294967295ELNS1_3gpuE0ELNS1_3repE0EEENS1_30default_config_static_selectorELNS0_4arch9wavefront6targetE0EEEvSI_
                                        ; -- End function
	.section	.AMDGPU.csdata,"",@progbits
; Kernel info:
; codeLenInByte = 0
; NumSgprs: 0
; NumVgprs: 0
; ScratchSize: 0
; MemoryBound: 0
; FloatMode: 240
; IeeeMode: 1
; LDSByteSize: 0 bytes/workgroup (compile time only)
; SGPRBlocks: 0
; VGPRBlocks: 0
; NumSGPRsForWavesPerEU: 1
; NumVGPRsForWavesPerEU: 1
; Occupancy: 16
; WaveLimiterHint : 0
; COMPUTE_PGM_RSRC2:SCRATCH_EN: 0
; COMPUTE_PGM_RSRC2:USER_SGPR: 15
; COMPUTE_PGM_RSRC2:TRAP_HANDLER: 0
; COMPUTE_PGM_RSRC2:TGID_X_EN: 1
; COMPUTE_PGM_RSRC2:TGID_Y_EN: 0
; COMPUTE_PGM_RSRC2:TGID_Z_EN: 0
; COMPUTE_PGM_RSRC2:TIDIG_COMP_CNT: 0
	.section	.text._ZN7rocprim17ROCPRIM_400000_NS6detail17trampoline_kernelINS0_14default_configENS1_22reduce_config_selectorIN6thrust23THRUST_200600_302600_NS5tupleIbffNS6_9null_typeES8_S8_S8_S8_S8_S8_EEEEZNS1_11reduce_implILb1ES3_PS9_SC_S9_12reduce_tupleIifEEE10hipError_tPvRmT1_T2_T3_mT4_P12ihipStream_tbEUlT_E0_NS1_11comp_targetILNS1_3genE5ELNS1_11target_archE942ELNS1_3gpuE9ELNS1_3repE0EEENS1_30default_config_static_selectorELNS0_4arch9wavefront6targetE0EEEvSI_,"axG",@progbits,_ZN7rocprim17ROCPRIM_400000_NS6detail17trampoline_kernelINS0_14default_configENS1_22reduce_config_selectorIN6thrust23THRUST_200600_302600_NS5tupleIbffNS6_9null_typeES8_S8_S8_S8_S8_S8_EEEEZNS1_11reduce_implILb1ES3_PS9_SC_S9_12reduce_tupleIifEEE10hipError_tPvRmT1_T2_T3_mT4_P12ihipStream_tbEUlT_E0_NS1_11comp_targetILNS1_3genE5ELNS1_11target_archE942ELNS1_3gpuE9ELNS1_3repE0EEENS1_30default_config_static_selectorELNS0_4arch9wavefront6targetE0EEEvSI_,comdat
	.protected	_ZN7rocprim17ROCPRIM_400000_NS6detail17trampoline_kernelINS0_14default_configENS1_22reduce_config_selectorIN6thrust23THRUST_200600_302600_NS5tupleIbffNS6_9null_typeES8_S8_S8_S8_S8_S8_EEEEZNS1_11reduce_implILb1ES3_PS9_SC_S9_12reduce_tupleIifEEE10hipError_tPvRmT1_T2_T3_mT4_P12ihipStream_tbEUlT_E0_NS1_11comp_targetILNS1_3genE5ELNS1_11target_archE942ELNS1_3gpuE9ELNS1_3repE0EEENS1_30default_config_static_selectorELNS0_4arch9wavefront6targetE0EEEvSI_ ; -- Begin function _ZN7rocprim17ROCPRIM_400000_NS6detail17trampoline_kernelINS0_14default_configENS1_22reduce_config_selectorIN6thrust23THRUST_200600_302600_NS5tupleIbffNS6_9null_typeES8_S8_S8_S8_S8_S8_EEEEZNS1_11reduce_implILb1ES3_PS9_SC_S9_12reduce_tupleIifEEE10hipError_tPvRmT1_T2_T3_mT4_P12ihipStream_tbEUlT_E0_NS1_11comp_targetILNS1_3genE5ELNS1_11target_archE942ELNS1_3gpuE9ELNS1_3repE0EEENS1_30default_config_static_selectorELNS0_4arch9wavefront6targetE0EEEvSI_
	.globl	_ZN7rocprim17ROCPRIM_400000_NS6detail17trampoline_kernelINS0_14default_configENS1_22reduce_config_selectorIN6thrust23THRUST_200600_302600_NS5tupleIbffNS6_9null_typeES8_S8_S8_S8_S8_S8_EEEEZNS1_11reduce_implILb1ES3_PS9_SC_S9_12reduce_tupleIifEEE10hipError_tPvRmT1_T2_T3_mT4_P12ihipStream_tbEUlT_E0_NS1_11comp_targetILNS1_3genE5ELNS1_11target_archE942ELNS1_3gpuE9ELNS1_3repE0EEENS1_30default_config_static_selectorELNS0_4arch9wavefront6targetE0EEEvSI_
	.p2align	8
	.type	_ZN7rocprim17ROCPRIM_400000_NS6detail17trampoline_kernelINS0_14default_configENS1_22reduce_config_selectorIN6thrust23THRUST_200600_302600_NS5tupleIbffNS6_9null_typeES8_S8_S8_S8_S8_S8_EEEEZNS1_11reduce_implILb1ES3_PS9_SC_S9_12reduce_tupleIifEEE10hipError_tPvRmT1_T2_T3_mT4_P12ihipStream_tbEUlT_E0_NS1_11comp_targetILNS1_3genE5ELNS1_11target_archE942ELNS1_3gpuE9ELNS1_3repE0EEENS1_30default_config_static_selectorELNS0_4arch9wavefront6targetE0EEEvSI_,@function
_ZN7rocprim17ROCPRIM_400000_NS6detail17trampoline_kernelINS0_14default_configENS1_22reduce_config_selectorIN6thrust23THRUST_200600_302600_NS5tupleIbffNS6_9null_typeES8_S8_S8_S8_S8_S8_EEEEZNS1_11reduce_implILb1ES3_PS9_SC_S9_12reduce_tupleIifEEE10hipError_tPvRmT1_T2_T3_mT4_P12ihipStream_tbEUlT_E0_NS1_11comp_targetILNS1_3genE5ELNS1_11target_archE942ELNS1_3gpuE9ELNS1_3repE0EEENS1_30default_config_static_selectorELNS0_4arch9wavefront6targetE0EEEvSI_: ; @_ZN7rocprim17ROCPRIM_400000_NS6detail17trampoline_kernelINS0_14default_configENS1_22reduce_config_selectorIN6thrust23THRUST_200600_302600_NS5tupleIbffNS6_9null_typeES8_S8_S8_S8_S8_S8_EEEEZNS1_11reduce_implILb1ES3_PS9_SC_S9_12reduce_tupleIifEEE10hipError_tPvRmT1_T2_T3_mT4_P12ihipStream_tbEUlT_E0_NS1_11comp_targetILNS1_3genE5ELNS1_11target_archE942ELNS1_3gpuE9ELNS1_3repE0EEENS1_30default_config_static_selectorELNS0_4arch9wavefront6targetE0EEEvSI_
; %bb.0:
	.section	.rodata,"a",@progbits
	.p2align	6, 0x0
	.amdhsa_kernel _ZN7rocprim17ROCPRIM_400000_NS6detail17trampoline_kernelINS0_14default_configENS1_22reduce_config_selectorIN6thrust23THRUST_200600_302600_NS5tupleIbffNS6_9null_typeES8_S8_S8_S8_S8_S8_EEEEZNS1_11reduce_implILb1ES3_PS9_SC_S9_12reduce_tupleIifEEE10hipError_tPvRmT1_T2_T3_mT4_P12ihipStream_tbEUlT_E0_NS1_11comp_targetILNS1_3genE5ELNS1_11target_archE942ELNS1_3gpuE9ELNS1_3repE0EEENS1_30default_config_static_selectorELNS0_4arch9wavefront6targetE0EEEvSI_
		.amdhsa_group_segment_fixed_size 0
		.amdhsa_private_segment_fixed_size 0
		.amdhsa_kernarg_size 64
		.amdhsa_user_sgpr_count 15
		.amdhsa_user_sgpr_dispatch_ptr 0
		.amdhsa_user_sgpr_queue_ptr 0
		.amdhsa_user_sgpr_kernarg_segment_ptr 1
		.amdhsa_user_sgpr_dispatch_id 0
		.amdhsa_user_sgpr_private_segment_size 0
		.amdhsa_wavefront_size32 1
		.amdhsa_uses_dynamic_stack 0
		.amdhsa_enable_private_segment 0
		.amdhsa_system_sgpr_workgroup_id_x 1
		.amdhsa_system_sgpr_workgroup_id_y 0
		.amdhsa_system_sgpr_workgroup_id_z 0
		.amdhsa_system_sgpr_workgroup_info 0
		.amdhsa_system_vgpr_workitem_id 0
		.amdhsa_next_free_vgpr 1
		.amdhsa_next_free_sgpr 1
		.amdhsa_reserve_vcc 0
		.amdhsa_float_round_mode_32 0
		.amdhsa_float_round_mode_16_64 0
		.amdhsa_float_denorm_mode_32 3
		.amdhsa_float_denorm_mode_16_64 3
		.amdhsa_dx10_clamp 1
		.amdhsa_ieee_mode 1
		.amdhsa_fp16_overflow 0
		.amdhsa_workgroup_processor_mode 1
		.amdhsa_memory_ordered 1
		.amdhsa_forward_progress 0
		.amdhsa_shared_vgpr_count 0
		.amdhsa_exception_fp_ieee_invalid_op 0
		.amdhsa_exception_fp_denorm_src 0
		.amdhsa_exception_fp_ieee_div_zero 0
		.amdhsa_exception_fp_ieee_overflow 0
		.amdhsa_exception_fp_ieee_underflow 0
		.amdhsa_exception_fp_ieee_inexact 0
		.amdhsa_exception_int_div_zero 0
	.end_amdhsa_kernel
	.section	.text._ZN7rocprim17ROCPRIM_400000_NS6detail17trampoline_kernelINS0_14default_configENS1_22reduce_config_selectorIN6thrust23THRUST_200600_302600_NS5tupleIbffNS6_9null_typeES8_S8_S8_S8_S8_S8_EEEEZNS1_11reduce_implILb1ES3_PS9_SC_S9_12reduce_tupleIifEEE10hipError_tPvRmT1_T2_T3_mT4_P12ihipStream_tbEUlT_E0_NS1_11comp_targetILNS1_3genE5ELNS1_11target_archE942ELNS1_3gpuE9ELNS1_3repE0EEENS1_30default_config_static_selectorELNS0_4arch9wavefront6targetE0EEEvSI_,"axG",@progbits,_ZN7rocprim17ROCPRIM_400000_NS6detail17trampoline_kernelINS0_14default_configENS1_22reduce_config_selectorIN6thrust23THRUST_200600_302600_NS5tupleIbffNS6_9null_typeES8_S8_S8_S8_S8_S8_EEEEZNS1_11reduce_implILb1ES3_PS9_SC_S9_12reduce_tupleIifEEE10hipError_tPvRmT1_T2_T3_mT4_P12ihipStream_tbEUlT_E0_NS1_11comp_targetILNS1_3genE5ELNS1_11target_archE942ELNS1_3gpuE9ELNS1_3repE0EEENS1_30default_config_static_selectorELNS0_4arch9wavefront6targetE0EEEvSI_,comdat
.Lfunc_end2:
	.size	_ZN7rocprim17ROCPRIM_400000_NS6detail17trampoline_kernelINS0_14default_configENS1_22reduce_config_selectorIN6thrust23THRUST_200600_302600_NS5tupleIbffNS6_9null_typeES8_S8_S8_S8_S8_S8_EEEEZNS1_11reduce_implILb1ES3_PS9_SC_S9_12reduce_tupleIifEEE10hipError_tPvRmT1_T2_T3_mT4_P12ihipStream_tbEUlT_E0_NS1_11comp_targetILNS1_3genE5ELNS1_11target_archE942ELNS1_3gpuE9ELNS1_3repE0EEENS1_30default_config_static_selectorELNS0_4arch9wavefront6targetE0EEEvSI_, .Lfunc_end2-_ZN7rocprim17ROCPRIM_400000_NS6detail17trampoline_kernelINS0_14default_configENS1_22reduce_config_selectorIN6thrust23THRUST_200600_302600_NS5tupleIbffNS6_9null_typeES8_S8_S8_S8_S8_S8_EEEEZNS1_11reduce_implILb1ES3_PS9_SC_S9_12reduce_tupleIifEEE10hipError_tPvRmT1_T2_T3_mT4_P12ihipStream_tbEUlT_E0_NS1_11comp_targetILNS1_3genE5ELNS1_11target_archE942ELNS1_3gpuE9ELNS1_3repE0EEENS1_30default_config_static_selectorELNS0_4arch9wavefront6targetE0EEEvSI_
                                        ; -- End function
	.section	.AMDGPU.csdata,"",@progbits
; Kernel info:
; codeLenInByte = 0
; NumSgprs: 0
; NumVgprs: 0
; ScratchSize: 0
; MemoryBound: 0
; FloatMode: 240
; IeeeMode: 1
; LDSByteSize: 0 bytes/workgroup (compile time only)
; SGPRBlocks: 0
; VGPRBlocks: 0
; NumSGPRsForWavesPerEU: 1
; NumVGPRsForWavesPerEU: 1
; Occupancy: 16
; WaveLimiterHint : 0
; COMPUTE_PGM_RSRC2:SCRATCH_EN: 0
; COMPUTE_PGM_RSRC2:USER_SGPR: 15
; COMPUTE_PGM_RSRC2:TRAP_HANDLER: 0
; COMPUTE_PGM_RSRC2:TGID_X_EN: 1
; COMPUTE_PGM_RSRC2:TGID_Y_EN: 0
; COMPUTE_PGM_RSRC2:TGID_Z_EN: 0
; COMPUTE_PGM_RSRC2:TIDIG_COMP_CNT: 0
	.section	.text._ZN7rocprim17ROCPRIM_400000_NS6detail17trampoline_kernelINS0_14default_configENS1_22reduce_config_selectorIN6thrust23THRUST_200600_302600_NS5tupleIbffNS6_9null_typeES8_S8_S8_S8_S8_S8_EEEEZNS1_11reduce_implILb1ES3_PS9_SC_S9_12reduce_tupleIifEEE10hipError_tPvRmT1_T2_T3_mT4_P12ihipStream_tbEUlT_E0_NS1_11comp_targetILNS1_3genE4ELNS1_11target_archE910ELNS1_3gpuE8ELNS1_3repE0EEENS1_30default_config_static_selectorELNS0_4arch9wavefront6targetE0EEEvSI_,"axG",@progbits,_ZN7rocprim17ROCPRIM_400000_NS6detail17trampoline_kernelINS0_14default_configENS1_22reduce_config_selectorIN6thrust23THRUST_200600_302600_NS5tupleIbffNS6_9null_typeES8_S8_S8_S8_S8_S8_EEEEZNS1_11reduce_implILb1ES3_PS9_SC_S9_12reduce_tupleIifEEE10hipError_tPvRmT1_T2_T3_mT4_P12ihipStream_tbEUlT_E0_NS1_11comp_targetILNS1_3genE4ELNS1_11target_archE910ELNS1_3gpuE8ELNS1_3repE0EEENS1_30default_config_static_selectorELNS0_4arch9wavefront6targetE0EEEvSI_,comdat
	.protected	_ZN7rocprim17ROCPRIM_400000_NS6detail17trampoline_kernelINS0_14default_configENS1_22reduce_config_selectorIN6thrust23THRUST_200600_302600_NS5tupleIbffNS6_9null_typeES8_S8_S8_S8_S8_S8_EEEEZNS1_11reduce_implILb1ES3_PS9_SC_S9_12reduce_tupleIifEEE10hipError_tPvRmT1_T2_T3_mT4_P12ihipStream_tbEUlT_E0_NS1_11comp_targetILNS1_3genE4ELNS1_11target_archE910ELNS1_3gpuE8ELNS1_3repE0EEENS1_30default_config_static_selectorELNS0_4arch9wavefront6targetE0EEEvSI_ ; -- Begin function _ZN7rocprim17ROCPRIM_400000_NS6detail17trampoline_kernelINS0_14default_configENS1_22reduce_config_selectorIN6thrust23THRUST_200600_302600_NS5tupleIbffNS6_9null_typeES8_S8_S8_S8_S8_S8_EEEEZNS1_11reduce_implILb1ES3_PS9_SC_S9_12reduce_tupleIifEEE10hipError_tPvRmT1_T2_T3_mT4_P12ihipStream_tbEUlT_E0_NS1_11comp_targetILNS1_3genE4ELNS1_11target_archE910ELNS1_3gpuE8ELNS1_3repE0EEENS1_30default_config_static_selectorELNS0_4arch9wavefront6targetE0EEEvSI_
	.globl	_ZN7rocprim17ROCPRIM_400000_NS6detail17trampoline_kernelINS0_14default_configENS1_22reduce_config_selectorIN6thrust23THRUST_200600_302600_NS5tupleIbffNS6_9null_typeES8_S8_S8_S8_S8_S8_EEEEZNS1_11reduce_implILb1ES3_PS9_SC_S9_12reduce_tupleIifEEE10hipError_tPvRmT1_T2_T3_mT4_P12ihipStream_tbEUlT_E0_NS1_11comp_targetILNS1_3genE4ELNS1_11target_archE910ELNS1_3gpuE8ELNS1_3repE0EEENS1_30default_config_static_selectorELNS0_4arch9wavefront6targetE0EEEvSI_
	.p2align	8
	.type	_ZN7rocprim17ROCPRIM_400000_NS6detail17trampoline_kernelINS0_14default_configENS1_22reduce_config_selectorIN6thrust23THRUST_200600_302600_NS5tupleIbffNS6_9null_typeES8_S8_S8_S8_S8_S8_EEEEZNS1_11reduce_implILb1ES3_PS9_SC_S9_12reduce_tupleIifEEE10hipError_tPvRmT1_T2_T3_mT4_P12ihipStream_tbEUlT_E0_NS1_11comp_targetILNS1_3genE4ELNS1_11target_archE910ELNS1_3gpuE8ELNS1_3repE0EEENS1_30default_config_static_selectorELNS0_4arch9wavefront6targetE0EEEvSI_,@function
_ZN7rocprim17ROCPRIM_400000_NS6detail17trampoline_kernelINS0_14default_configENS1_22reduce_config_selectorIN6thrust23THRUST_200600_302600_NS5tupleIbffNS6_9null_typeES8_S8_S8_S8_S8_S8_EEEEZNS1_11reduce_implILb1ES3_PS9_SC_S9_12reduce_tupleIifEEE10hipError_tPvRmT1_T2_T3_mT4_P12ihipStream_tbEUlT_E0_NS1_11comp_targetILNS1_3genE4ELNS1_11target_archE910ELNS1_3gpuE8ELNS1_3repE0EEENS1_30default_config_static_selectorELNS0_4arch9wavefront6targetE0EEEvSI_: ; @_ZN7rocprim17ROCPRIM_400000_NS6detail17trampoline_kernelINS0_14default_configENS1_22reduce_config_selectorIN6thrust23THRUST_200600_302600_NS5tupleIbffNS6_9null_typeES8_S8_S8_S8_S8_S8_EEEEZNS1_11reduce_implILb1ES3_PS9_SC_S9_12reduce_tupleIifEEE10hipError_tPvRmT1_T2_T3_mT4_P12ihipStream_tbEUlT_E0_NS1_11comp_targetILNS1_3genE4ELNS1_11target_archE910ELNS1_3gpuE8ELNS1_3repE0EEENS1_30default_config_static_selectorELNS0_4arch9wavefront6targetE0EEEvSI_
; %bb.0:
	.section	.rodata,"a",@progbits
	.p2align	6, 0x0
	.amdhsa_kernel _ZN7rocprim17ROCPRIM_400000_NS6detail17trampoline_kernelINS0_14default_configENS1_22reduce_config_selectorIN6thrust23THRUST_200600_302600_NS5tupleIbffNS6_9null_typeES8_S8_S8_S8_S8_S8_EEEEZNS1_11reduce_implILb1ES3_PS9_SC_S9_12reduce_tupleIifEEE10hipError_tPvRmT1_T2_T3_mT4_P12ihipStream_tbEUlT_E0_NS1_11comp_targetILNS1_3genE4ELNS1_11target_archE910ELNS1_3gpuE8ELNS1_3repE0EEENS1_30default_config_static_selectorELNS0_4arch9wavefront6targetE0EEEvSI_
		.amdhsa_group_segment_fixed_size 0
		.amdhsa_private_segment_fixed_size 0
		.amdhsa_kernarg_size 64
		.amdhsa_user_sgpr_count 15
		.amdhsa_user_sgpr_dispatch_ptr 0
		.amdhsa_user_sgpr_queue_ptr 0
		.amdhsa_user_sgpr_kernarg_segment_ptr 1
		.amdhsa_user_sgpr_dispatch_id 0
		.amdhsa_user_sgpr_private_segment_size 0
		.amdhsa_wavefront_size32 1
		.amdhsa_uses_dynamic_stack 0
		.amdhsa_enable_private_segment 0
		.amdhsa_system_sgpr_workgroup_id_x 1
		.amdhsa_system_sgpr_workgroup_id_y 0
		.amdhsa_system_sgpr_workgroup_id_z 0
		.amdhsa_system_sgpr_workgroup_info 0
		.amdhsa_system_vgpr_workitem_id 0
		.amdhsa_next_free_vgpr 1
		.amdhsa_next_free_sgpr 1
		.amdhsa_reserve_vcc 0
		.amdhsa_float_round_mode_32 0
		.amdhsa_float_round_mode_16_64 0
		.amdhsa_float_denorm_mode_32 3
		.amdhsa_float_denorm_mode_16_64 3
		.amdhsa_dx10_clamp 1
		.amdhsa_ieee_mode 1
		.amdhsa_fp16_overflow 0
		.amdhsa_workgroup_processor_mode 1
		.amdhsa_memory_ordered 1
		.amdhsa_forward_progress 0
		.amdhsa_shared_vgpr_count 0
		.amdhsa_exception_fp_ieee_invalid_op 0
		.amdhsa_exception_fp_denorm_src 0
		.amdhsa_exception_fp_ieee_div_zero 0
		.amdhsa_exception_fp_ieee_overflow 0
		.amdhsa_exception_fp_ieee_underflow 0
		.amdhsa_exception_fp_ieee_inexact 0
		.amdhsa_exception_int_div_zero 0
	.end_amdhsa_kernel
	.section	.text._ZN7rocprim17ROCPRIM_400000_NS6detail17trampoline_kernelINS0_14default_configENS1_22reduce_config_selectorIN6thrust23THRUST_200600_302600_NS5tupleIbffNS6_9null_typeES8_S8_S8_S8_S8_S8_EEEEZNS1_11reduce_implILb1ES3_PS9_SC_S9_12reduce_tupleIifEEE10hipError_tPvRmT1_T2_T3_mT4_P12ihipStream_tbEUlT_E0_NS1_11comp_targetILNS1_3genE4ELNS1_11target_archE910ELNS1_3gpuE8ELNS1_3repE0EEENS1_30default_config_static_selectorELNS0_4arch9wavefront6targetE0EEEvSI_,"axG",@progbits,_ZN7rocprim17ROCPRIM_400000_NS6detail17trampoline_kernelINS0_14default_configENS1_22reduce_config_selectorIN6thrust23THRUST_200600_302600_NS5tupleIbffNS6_9null_typeES8_S8_S8_S8_S8_S8_EEEEZNS1_11reduce_implILb1ES3_PS9_SC_S9_12reduce_tupleIifEEE10hipError_tPvRmT1_T2_T3_mT4_P12ihipStream_tbEUlT_E0_NS1_11comp_targetILNS1_3genE4ELNS1_11target_archE910ELNS1_3gpuE8ELNS1_3repE0EEENS1_30default_config_static_selectorELNS0_4arch9wavefront6targetE0EEEvSI_,comdat
.Lfunc_end3:
	.size	_ZN7rocprim17ROCPRIM_400000_NS6detail17trampoline_kernelINS0_14default_configENS1_22reduce_config_selectorIN6thrust23THRUST_200600_302600_NS5tupleIbffNS6_9null_typeES8_S8_S8_S8_S8_S8_EEEEZNS1_11reduce_implILb1ES3_PS9_SC_S9_12reduce_tupleIifEEE10hipError_tPvRmT1_T2_T3_mT4_P12ihipStream_tbEUlT_E0_NS1_11comp_targetILNS1_3genE4ELNS1_11target_archE910ELNS1_3gpuE8ELNS1_3repE0EEENS1_30default_config_static_selectorELNS0_4arch9wavefront6targetE0EEEvSI_, .Lfunc_end3-_ZN7rocprim17ROCPRIM_400000_NS6detail17trampoline_kernelINS0_14default_configENS1_22reduce_config_selectorIN6thrust23THRUST_200600_302600_NS5tupleIbffNS6_9null_typeES8_S8_S8_S8_S8_S8_EEEEZNS1_11reduce_implILb1ES3_PS9_SC_S9_12reduce_tupleIifEEE10hipError_tPvRmT1_T2_T3_mT4_P12ihipStream_tbEUlT_E0_NS1_11comp_targetILNS1_3genE4ELNS1_11target_archE910ELNS1_3gpuE8ELNS1_3repE0EEENS1_30default_config_static_selectorELNS0_4arch9wavefront6targetE0EEEvSI_
                                        ; -- End function
	.section	.AMDGPU.csdata,"",@progbits
; Kernel info:
; codeLenInByte = 0
; NumSgprs: 0
; NumVgprs: 0
; ScratchSize: 0
; MemoryBound: 0
; FloatMode: 240
; IeeeMode: 1
; LDSByteSize: 0 bytes/workgroup (compile time only)
; SGPRBlocks: 0
; VGPRBlocks: 0
; NumSGPRsForWavesPerEU: 1
; NumVGPRsForWavesPerEU: 1
; Occupancy: 16
; WaveLimiterHint : 0
; COMPUTE_PGM_RSRC2:SCRATCH_EN: 0
; COMPUTE_PGM_RSRC2:USER_SGPR: 15
; COMPUTE_PGM_RSRC2:TRAP_HANDLER: 0
; COMPUTE_PGM_RSRC2:TGID_X_EN: 1
; COMPUTE_PGM_RSRC2:TGID_Y_EN: 0
; COMPUTE_PGM_RSRC2:TGID_Z_EN: 0
; COMPUTE_PGM_RSRC2:TIDIG_COMP_CNT: 0
	.section	.text._ZN7rocprim17ROCPRIM_400000_NS6detail17trampoline_kernelINS0_14default_configENS1_22reduce_config_selectorIN6thrust23THRUST_200600_302600_NS5tupleIbffNS6_9null_typeES8_S8_S8_S8_S8_S8_EEEEZNS1_11reduce_implILb1ES3_PS9_SC_S9_12reduce_tupleIifEEE10hipError_tPvRmT1_T2_T3_mT4_P12ihipStream_tbEUlT_E0_NS1_11comp_targetILNS1_3genE3ELNS1_11target_archE908ELNS1_3gpuE7ELNS1_3repE0EEENS1_30default_config_static_selectorELNS0_4arch9wavefront6targetE0EEEvSI_,"axG",@progbits,_ZN7rocprim17ROCPRIM_400000_NS6detail17trampoline_kernelINS0_14default_configENS1_22reduce_config_selectorIN6thrust23THRUST_200600_302600_NS5tupleIbffNS6_9null_typeES8_S8_S8_S8_S8_S8_EEEEZNS1_11reduce_implILb1ES3_PS9_SC_S9_12reduce_tupleIifEEE10hipError_tPvRmT1_T2_T3_mT4_P12ihipStream_tbEUlT_E0_NS1_11comp_targetILNS1_3genE3ELNS1_11target_archE908ELNS1_3gpuE7ELNS1_3repE0EEENS1_30default_config_static_selectorELNS0_4arch9wavefront6targetE0EEEvSI_,comdat
	.protected	_ZN7rocprim17ROCPRIM_400000_NS6detail17trampoline_kernelINS0_14default_configENS1_22reduce_config_selectorIN6thrust23THRUST_200600_302600_NS5tupleIbffNS6_9null_typeES8_S8_S8_S8_S8_S8_EEEEZNS1_11reduce_implILb1ES3_PS9_SC_S9_12reduce_tupleIifEEE10hipError_tPvRmT1_T2_T3_mT4_P12ihipStream_tbEUlT_E0_NS1_11comp_targetILNS1_3genE3ELNS1_11target_archE908ELNS1_3gpuE7ELNS1_3repE0EEENS1_30default_config_static_selectorELNS0_4arch9wavefront6targetE0EEEvSI_ ; -- Begin function _ZN7rocprim17ROCPRIM_400000_NS6detail17trampoline_kernelINS0_14default_configENS1_22reduce_config_selectorIN6thrust23THRUST_200600_302600_NS5tupleIbffNS6_9null_typeES8_S8_S8_S8_S8_S8_EEEEZNS1_11reduce_implILb1ES3_PS9_SC_S9_12reduce_tupleIifEEE10hipError_tPvRmT1_T2_T3_mT4_P12ihipStream_tbEUlT_E0_NS1_11comp_targetILNS1_3genE3ELNS1_11target_archE908ELNS1_3gpuE7ELNS1_3repE0EEENS1_30default_config_static_selectorELNS0_4arch9wavefront6targetE0EEEvSI_
	.globl	_ZN7rocprim17ROCPRIM_400000_NS6detail17trampoline_kernelINS0_14default_configENS1_22reduce_config_selectorIN6thrust23THRUST_200600_302600_NS5tupleIbffNS6_9null_typeES8_S8_S8_S8_S8_S8_EEEEZNS1_11reduce_implILb1ES3_PS9_SC_S9_12reduce_tupleIifEEE10hipError_tPvRmT1_T2_T3_mT4_P12ihipStream_tbEUlT_E0_NS1_11comp_targetILNS1_3genE3ELNS1_11target_archE908ELNS1_3gpuE7ELNS1_3repE0EEENS1_30default_config_static_selectorELNS0_4arch9wavefront6targetE0EEEvSI_
	.p2align	8
	.type	_ZN7rocprim17ROCPRIM_400000_NS6detail17trampoline_kernelINS0_14default_configENS1_22reduce_config_selectorIN6thrust23THRUST_200600_302600_NS5tupleIbffNS6_9null_typeES8_S8_S8_S8_S8_S8_EEEEZNS1_11reduce_implILb1ES3_PS9_SC_S9_12reduce_tupleIifEEE10hipError_tPvRmT1_T2_T3_mT4_P12ihipStream_tbEUlT_E0_NS1_11comp_targetILNS1_3genE3ELNS1_11target_archE908ELNS1_3gpuE7ELNS1_3repE0EEENS1_30default_config_static_selectorELNS0_4arch9wavefront6targetE0EEEvSI_,@function
_ZN7rocprim17ROCPRIM_400000_NS6detail17trampoline_kernelINS0_14default_configENS1_22reduce_config_selectorIN6thrust23THRUST_200600_302600_NS5tupleIbffNS6_9null_typeES8_S8_S8_S8_S8_S8_EEEEZNS1_11reduce_implILb1ES3_PS9_SC_S9_12reduce_tupleIifEEE10hipError_tPvRmT1_T2_T3_mT4_P12ihipStream_tbEUlT_E0_NS1_11comp_targetILNS1_3genE3ELNS1_11target_archE908ELNS1_3gpuE7ELNS1_3repE0EEENS1_30default_config_static_selectorELNS0_4arch9wavefront6targetE0EEEvSI_: ; @_ZN7rocprim17ROCPRIM_400000_NS6detail17trampoline_kernelINS0_14default_configENS1_22reduce_config_selectorIN6thrust23THRUST_200600_302600_NS5tupleIbffNS6_9null_typeES8_S8_S8_S8_S8_S8_EEEEZNS1_11reduce_implILb1ES3_PS9_SC_S9_12reduce_tupleIifEEE10hipError_tPvRmT1_T2_T3_mT4_P12ihipStream_tbEUlT_E0_NS1_11comp_targetILNS1_3genE3ELNS1_11target_archE908ELNS1_3gpuE7ELNS1_3repE0EEENS1_30default_config_static_selectorELNS0_4arch9wavefront6targetE0EEEvSI_
; %bb.0:
	.section	.rodata,"a",@progbits
	.p2align	6, 0x0
	.amdhsa_kernel _ZN7rocprim17ROCPRIM_400000_NS6detail17trampoline_kernelINS0_14default_configENS1_22reduce_config_selectorIN6thrust23THRUST_200600_302600_NS5tupleIbffNS6_9null_typeES8_S8_S8_S8_S8_S8_EEEEZNS1_11reduce_implILb1ES3_PS9_SC_S9_12reduce_tupleIifEEE10hipError_tPvRmT1_T2_T3_mT4_P12ihipStream_tbEUlT_E0_NS1_11comp_targetILNS1_3genE3ELNS1_11target_archE908ELNS1_3gpuE7ELNS1_3repE0EEENS1_30default_config_static_selectorELNS0_4arch9wavefront6targetE0EEEvSI_
		.amdhsa_group_segment_fixed_size 0
		.amdhsa_private_segment_fixed_size 0
		.amdhsa_kernarg_size 64
		.amdhsa_user_sgpr_count 15
		.amdhsa_user_sgpr_dispatch_ptr 0
		.amdhsa_user_sgpr_queue_ptr 0
		.amdhsa_user_sgpr_kernarg_segment_ptr 1
		.amdhsa_user_sgpr_dispatch_id 0
		.amdhsa_user_sgpr_private_segment_size 0
		.amdhsa_wavefront_size32 1
		.amdhsa_uses_dynamic_stack 0
		.amdhsa_enable_private_segment 0
		.amdhsa_system_sgpr_workgroup_id_x 1
		.amdhsa_system_sgpr_workgroup_id_y 0
		.amdhsa_system_sgpr_workgroup_id_z 0
		.amdhsa_system_sgpr_workgroup_info 0
		.amdhsa_system_vgpr_workitem_id 0
		.amdhsa_next_free_vgpr 1
		.amdhsa_next_free_sgpr 1
		.amdhsa_reserve_vcc 0
		.amdhsa_float_round_mode_32 0
		.amdhsa_float_round_mode_16_64 0
		.amdhsa_float_denorm_mode_32 3
		.amdhsa_float_denorm_mode_16_64 3
		.amdhsa_dx10_clamp 1
		.amdhsa_ieee_mode 1
		.amdhsa_fp16_overflow 0
		.amdhsa_workgroup_processor_mode 1
		.amdhsa_memory_ordered 1
		.amdhsa_forward_progress 0
		.amdhsa_shared_vgpr_count 0
		.amdhsa_exception_fp_ieee_invalid_op 0
		.amdhsa_exception_fp_denorm_src 0
		.amdhsa_exception_fp_ieee_div_zero 0
		.amdhsa_exception_fp_ieee_overflow 0
		.amdhsa_exception_fp_ieee_underflow 0
		.amdhsa_exception_fp_ieee_inexact 0
		.amdhsa_exception_int_div_zero 0
	.end_amdhsa_kernel
	.section	.text._ZN7rocprim17ROCPRIM_400000_NS6detail17trampoline_kernelINS0_14default_configENS1_22reduce_config_selectorIN6thrust23THRUST_200600_302600_NS5tupleIbffNS6_9null_typeES8_S8_S8_S8_S8_S8_EEEEZNS1_11reduce_implILb1ES3_PS9_SC_S9_12reduce_tupleIifEEE10hipError_tPvRmT1_T2_T3_mT4_P12ihipStream_tbEUlT_E0_NS1_11comp_targetILNS1_3genE3ELNS1_11target_archE908ELNS1_3gpuE7ELNS1_3repE0EEENS1_30default_config_static_selectorELNS0_4arch9wavefront6targetE0EEEvSI_,"axG",@progbits,_ZN7rocprim17ROCPRIM_400000_NS6detail17trampoline_kernelINS0_14default_configENS1_22reduce_config_selectorIN6thrust23THRUST_200600_302600_NS5tupleIbffNS6_9null_typeES8_S8_S8_S8_S8_S8_EEEEZNS1_11reduce_implILb1ES3_PS9_SC_S9_12reduce_tupleIifEEE10hipError_tPvRmT1_T2_T3_mT4_P12ihipStream_tbEUlT_E0_NS1_11comp_targetILNS1_3genE3ELNS1_11target_archE908ELNS1_3gpuE7ELNS1_3repE0EEENS1_30default_config_static_selectorELNS0_4arch9wavefront6targetE0EEEvSI_,comdat
.Lfunc_end4:
	.size	_ZN7rocprim17ROCPRIM_400000_NS6detail17trampoline_kernelINS0_14default_configENS1_22reduce_config_selectorIN6thrust23THRUST_200600_302600_NS5tupleIbffNS6_9null_typeES8_S8_S8_S8_S8_S8_EEEEZNS1_11reduce_implILb1ES3_PS9_SC_S9_12reduce_tupleIifEEE10hipError_tPvRmT1_T2_T3_mT4_P12ihipStream_tbEUlT_E0_NS1_11comp_targetILNS1_3genE3ELNS1_11target_archE908ELNS1_3gpuE7ELNS1_3repE0EEENS1_30default_config_static_selectorELNS0_4arch9wavefront6targetE0EEEvSI_, .Lfunc_end4-_ZN7rocprim17ROCPRIM_400000_NS6detail17trampoline_kernelINS0_14default_configENS1_22reduce_config_selectorIN6thrust23THRUST_200600_302600_NS5tupleIbffNS6_9null_typeES8_S8_S8_S8_S8_S8_EEEEZNS1_11reduce_implILb1ES3_PS9_SC_S9_12reduce_tupleIifEEE10hipError_tPvRmT1_T2_T3_mT4_P12ihipStream_tbEUlT_E0_NS1_11comp_targetILNS1_3genE3ELNS1_11target_archE908ELNS1_3gpuE7ELNS1_3repE0EEENS1_30default_config_static_selectorELNS0_4arch9wavefront6targetE0EEEvSI_
                                        ; -- End function
	.section	.AMDGPU.csdata,"",@progbits
; Kernel info:
; codeLenInByte = 0
; NumSgprs: 0
; NumVgprs: 0
; ScratchSize: 0
; MemoryBound: 0
; FloatMode: 240
; IeeeMode: 1
; LDSByteSize: 0 bytes/workgroup (compile time only)
; SGPRBlocks: 0
; VGPRBlocks: 0
; NumSGPRsForWavesPerEU: 1
; NumVGPRsForWavesPerEU: 1
; Occupancy: 16
; WaveLimiterHint : 0
; COMPUTE_PGM_RSRC2:SCRATCH_EN: 0
; COMPUTE_PGM_RSRC2:USER_SGPR: 15
; COMPUTE_PGM_RSRC2:TRAP_HANDLER: 0
; COMPUTE_PGM_RSRC2:TGID_X_EN: 1
; COMPUTE_PGM_RSRC2:TGID_Y_EN: 0
; COMPUTE_PGM_RSRC2:TGID_Z_EN: 0
; COMPUTE_PGM_RSRC2:TIDIG_COMP_CNT: 0
	.section	.text._ZN7rocprim17ROCPRIM_400000_NS6detail17trampoline_kernelINS0_14default_configENS1_22reduce_config_selectorIN6thrust23THRUST_200600_302600_NS5tupleIbffNS6_9null_typeES8_S8_S8_S8_S8_S8_EEEEZNS1_11reduce_implILb1ES3_PS9_SC_S9_12reduce_tupleIifEEE10hipError_tPvRmT1_T2_T3_mT4_P12ihipStream_tbEUlT_E0_NS1_11comp_targetILNS1_3genE2ELNS1_11target_archE906ELNS1_3gpuE6ELNS1_3repE0EEENS1_30default_config_static_selectorELNS0_4arch9wavefront6targetE0EEEvSI_,"axG",@progbits,_ZN7rocprim17ROCPRIM_400000_NS6detail17trampoline_kernelINS0_14default_configENS1_22reduce_config_selectorIN6thrust23THRUST_200600_302600_NS5tupleIbffNS6_9null_typeES8_S8_S8_S8_S8_S8_EEEEZNS1_11reduce_implILb1ES3_PS9_SC_S9_12reduce_tupleIifEEE10hipError_tPvRmT1_T2_T3_mT4_P12ihipStream_tbEUlT_E0_NS1_11comp_targetILNS1_3genE2ELNS1_11target_archE906ELNS1_3gpuE6ELNS1_3repE0EEENS1_30default_config_static_selectorELNS0_4arch9wavefront6targetE0EEEvSI_,comdat
	.protected	_ZN7rocprim17ROCPRIM_400000_NS6detail17trampoline_kernelINS0_14default_configENS1_22reduce_config_selectorIN6thrust23THRUST_200600_302600_NS5tupleIbffNS6_9null_typeES8_S8_S8_S8_S8_S8_EEEEZNS1_11reduce_implILb1ES3_PS9_SC_S9_12reduce_tupleIifEEE10hipError_tPvRmT1_T2_T3_mT4_P12ihipStream_tbEUlT_E0_NS1_11comp_targetILNS1_3genE2ELNS1_11target_archE906ELNS1_3gpuE6ELNS1_3repE0EEENS1_30default_config_static_selectorELNS0_4arch9wavefront6targetE0EEEvSI_ ; -- Begin function _ZN7rocprim17ROCPRIM_400000_NS6detail17trampoline_kernelINS0_14default_configENS1_22reduce_config_selectorIN6thrust23THRUST_200600_302600_NS5tupleIbffNS6_9null_typeES8_S8_S8_S8_S8_S8_EEEEZNS1_11reduce_implILb1ES3_PS9_SC_S9_12reduce_tupleIifEEE10hipError_tPvRmT1_T2_T3_mT4_P12ihipStream_tbEUlT_E0_NS1_11comp_targetILNS1_3genE2ELNS1_11target_archE906ELNS1_3gpuE6ELNS1_3repE0EEENS1_30default_config_static_selectorELNS0_4arch9wavefront6targetE0EEEvSI_
	.globl	_ZN7rocprim17ROCPRIM_400000_NS6detail17trampoline_kernelINS0_14default_configENS1_22reduce_config_selectorIN6thrust23THRUST_200600_302600_NS5tupleIbffNS6_9null_typeES8_S8_S8_S8_S8_S8_EEEEZNS1_11reduce_implILb1ES3_PS9_SC_S9_12reduce_tupleIifEEE10hipError_tPvRmT1_T2_T3_mT4_P12ihipStream_tbEUlT_E0_NS1_11comp_targetILNS1_3genE2ELNS1_11target_archE906ELNS1_3gpuE6ELNS1_3repE0EEENS1_30default_config_static_selectorELNS0_4arch9wavefront6targetE0EEEvSI_
	.p2align	8
	.type	_ZN7rocprim17ROCPRIM_400000_NS6detail17trampoline_kernelINS0_14default_configENS1_22reduce_config_selectorIN6thrust23THRUST_200600_302600_NS5tupleIbffNS6_9null_typeES8_S8_S8_S8_S8_S8_EEEEZNS1_11reduce_implILb1ES3_PS9_SC_S9_12reduce_tupleIifEEE10hipError_tPvRmT1_T2_T3_mT4_P12ihipStream_tbEUlT_E0_NS1_11comp_targetILNS1_3genE2ELNS1_11target_archE906ELNS1_3gpuE6ELNS1_3repE0EEENS1_30default_config_static_selectorELNS0_4arch9wavefront6targetE0EEEvSI_,@function
_ZN7rocprim17ROCPRIM_400000_NS6detail17trampoline_kernelINS0_14default_configENS1_22reduce_config_selectorIN6thrust23THRUST_200600_302600_NS5tupleIbffNS6_9null_typeES8_S8_S8_S8_S8_S8_EEEEZNS1_11reduce_implILb1ES3_PS9_SC_S9_12reduce_tupleIifEEE10hipError_tPvRmT1_T2_T3_mT4_P12ihipStream_tbEUlT_E0_NS1_11comp_targetILNS1_3genE2ELNS1_11target_archE906ELNS1_3gpuE6ELNS1_3repE0EEENS1_30default_config_static_selectorELNS0_4arch9wavefront6targetE0EEEvSI_: ; @_ZN7rocprim17ROCPRIM_400000_NS6detail17trampoline_kernelINS0_14default_configENS1_22reduce_config_selectorIN6thrust23THRUST_200600_302600_NS5tupleIbffNS6_9null_typeES8_S8_S8_S8_S8_S8_EEEEZNS1_11reduce_implILb1ES3_PS9_SC_S9_12reduce_tupleIifEEE10hipError_tPvRmT1_T2_T3_mT4_P12ihipStream_tbEUlT_E0_NS1_11comp_targetILNS1_3genE2ELNS1_11target_archE906ELNS1_3gpuE6ELNS1_3repE0EEENS1_30default_config_static_selectorELNS0_4arch9wavefront6targetE0EEEvSI_
; %bb.0:
	.section	.rodata,"a",@progbits
	.p2align	6, 0x0
	.amdhsa_kernel _ZN7rocprim17ROCPRIM_400000_NS6detail17trampoline_kernelINS0_14default_configENS1_22reduce_config_selectorIN6thrust23THRUST_200600_302600_NS5tupleIbffNS6_9null_typeES8_S8_S8_S8_S8_S8_EEEEZNS1_11reduce_implILb1ES3_PS9_SC_S9_12reduce_tupleIifEEE10hipError_tPvRmT1_T2_T3_mT4_P12ihipStream_tbEUlT_E0_NS1_11comp_targetILNS1_3genE2ELNS1_11target_archE906ELNS1_3gpuE6ELNS1_3repE0EEENS1_30default_config_static_selectorELNS0_4arch9wavefront6targetE0EEEvSI_
		.amdhsa_group_segment_fixed_size 0
		.amdhsa_private_segment_fixed_size 0
		.amdhsa_kernarg_size 64
		.amdhsa_user_sgpr_count 15
		.amdhsa_user_sgpr_dispatch_ptr 0
		.amdhsa_user_sgpr_queue_ptr 0
		.amdhsa_user_sgpr_kernarg_segment_ptr 1
		.amdhsa_user_sgpr_dispatch_id 0
		.amdhsa_user_sgpr_private_segment_size 0
		.amdhsa_wavefront_size32 1
		.amdhsa_uses_dynamic_stack 0
		.amdhsa_enable_private_segment 0
		.amdhsa_system_sgpr_workgroup_id_x 1
		.amdhsa_system_sgpr_workgroup_id_y 0
		.amdhsa_system_sgpr_workgroup_id_z 0
		.amdhsa_system_sgpr_workgroup_info 0
		.amdhsa_system_vgpr_workitem_id 0
		.amdhsa_next_free_vgpr 1
		.amdhsa_next_free_sgpr 1
		.amdhsa_reserve_vcc 0
		.amdhsa_float_round_mode_32 0
		.amdhsa_float_round_mode_16_64 0
		.amdhsa_float_denorm_mode_32 3
		.amdhsa_float_denorm_mode_16_64 3
		.amdhsa_dx10_clamp 1
		.amdhsa_ieee_mode 1
		.amdhsa_fp16_overflow 0
		.amdhsa_workgroup_processor_mode 1
		.amdhsa_memory_ordered 1
		.amdhsa_forward_progress 0
		.amdhsa_shared_vgpr_count 0
		.amdhsa_exception_fp_ieee_invalid_op 0
		.amdhsa_exception_fp_denorm_src 0
		.amdhsa_exception_fp_ieee_div_zero 0
		.amdhsa_exception_fp_ieee_overflow 0
		.amdhsa_exception_fp_ieee_underflow 0
		.amdhsa_exception_fp_ieee_inexact 0
		.amdhsa_exception_int_div_zero 0
	.end_amdhsa_kernel
	.section	.text._ZN7rocprim17ROCPRIM_400000_NS6detail17trampoline_kernelINS0_14default_configENS1_22reduce_config_selectorIN6thrust23THRUST_200600_302600_NS5tupleIbffNS6_9null_typeES8_S8_S8_S8_S8_S8_EEEEZNS1_11reduce_implILb1ES3_PS9_SC_S9_12reduce_tupleIifEEE10hipError_tPvRmT1_T2_T3_mT4_P12ihipStream_tbEUlT_E0_NS1_11comp_targetILNS1_3genE2ELNS1_11target_archE906ELNS1_3gpuE6ELNS1_3repE0EEENS1_30default_config_static_selectorELNS0_4arch9wavefront6targetE0EEEvSI_,"axG",@progbits,_ZN7rocprim17ROCPRIM_400000_NS6detail17trampoline_kernelINS0_14default_configENS1_22reduce_config_selectorIN6thrust23THRUST_200600_302600_NS5tupleIbffNS6_9null_typeES8_S8_S8_S8_S8_S8_EEEEZNS1_11reduce_implILb1ES3_PS9_SC_S9_12reduce_tupleIifEEE10hipError_tPvRmT1_T2_T3_mT4_P12ihipStream_tbEUlT_E0_NS1_11comp_targetILNS1_3genE2ELNS1_11target_archE906ELNS1_3gpuE6ELNS1_3repE0EEENS1_30default_config_static_selectorELNS0_4arch9wavefront6targetE0EEEvSI_,comdat
.Lfunc_end5:
	.size	_ZN7rocprim17ROCPRIM_400000_NS6detail17trampoline_kernelINS0_14default_configENS1_22reduce_config_selectorIN6thrust23THRUST_200600_302600_NS5tupleIbffNS6_9null_typeES8_S8_S8_S8_S8_S8_EEEEZNS1_11reduce_implILb1ES3_PS9_SC_S9_12reduce_tupleIifEEE10hipError_tPvRmT1_T2_T3_mT4_P12ihipStream_tbEUlT_E0_NS1_11comp_targetILNS1_3genE2ELNS1_11target_archE906ELNS1_3gpuE6ELNS1_3repE0EEENS1_30default_config_static_selectorELNS0_4arch9wavefront6targetE0EEEvSI_, .Lfunc_end5-_ZN7rocprim17ROCPRIM_400000_NS6detail17trampoline_kernelINS0_14default_configENS1_22reduce_config_selectorIN6thrust23THRUST_200600_302600_NS5tupleIbffNS6_9null_typeES8_S8_S8_S8_S8_S8_EEEEZNS1_11reduce_implILb1ES3_PS9_SC_S9_12reduce_tupleIifEEE10hipError_tPvRmT1_T2_T3_mT4_P12ihipStream_tbEUlT_E0_NS1_11comp_targetILNS1_3genE2ELNS1_11target_archE906ELNS1_3gpuE6ELNS1_3repE0EEENS1_30default_config_static_selectorELNS0_4arch9wavefront6targetE0EEEvSI_
                                        ; -- End function
	.section	.AMDGPU.csdata,"",@progbits
; Kernel info:
; codeLenInByte = 0
; NumSgprs: 0
; NumVgprs: 0
; ScratchSize: 0
; MemoryBound: 0
; FloatMode: 240
; IeeeMode: 1
; LDSByteSize: 0 bytes/workgroup (compile time only)
; SGPRBlocks: 0
; VGPRBlocks: 0
; NumSGPRsForWavesPerEU: 1
; NumVGPRsForWavesPerEU: 1
; Occupancy: 16
; WaveLimiterHint : 0
; COMPUTE_PGM_RSRC2:SCRATCH_EN: 0
; COMPUTE_PGM_RSRC2:USER_SGPR: 15
; COMPUTE_PGM_RSRC2:TRAP_HANDLER: 0
; COMPUTE_PGM_RSRC2:TGID_X_EN: 1
; COMPUTE_PGM_RSRC2:TGID_Y_EN: 0
; COMPUTE_PGM_RSRC2:TGID_Z_EN: 0
; COMPUTE_PGM_RSRC2:TIDIG_COMP_CNT: 0
	.section	.text._ZN7rocprim17ROCPRIM_400000_NS6detail17trampoline_kernelINS0_14default_configENS1_22reduce_config_selectorIN6thrust23THRUST_200600_302600_NS5tupleIbffNS6_9null_typeES8_S8_S8_S8_S8_S8_EEEEZNS1_11reduce_implILb1ES3_PS9_SC_S9_12reduce_tupleIifEEE10hipError_tPvRmT1_T2_T3_mT4_P12ihipStream_tbEUlT_E0_NS1_11comp_targetILNS1_3genE10ELNS1_11target_archE1201ELNS1_3gpuE5ELNS1_3repE0EEENS1_30default_config_static_selectorELNS0_4arch9wavefront6targetE0EEEvSI_,"axG",@progbits,_ZN7rocprim17ROCPRIM_400000_NS6detail17trampoline_kernelINS0_14default_configENS1_22reduce_config_selectorIN6thrust23THRUST_200600_302600_NS5tupleIbffNS6_9null_typeES8_S8_S8_S8_S8_S8_EEEEZNS1_11reduce_implILb1ES3_PS9_SC_S9_12reduce_tupleIifEEE10hipError_tPvRmT1_T2_T3_mT4_P12ihipStream_tbEUlT_E0_NS1_11comp_targetILNS1_3genE10ELNS1_11target_archE1201ELNS1_3gpuE5ELNS1_3repE0EEENS1_30default_config_static_selectorELNS0_4arch9wavefront6targetE0EEEvSI_,comdat
	.protected	_ZN7rocprim17ROCPRIM_400000_NS6detail17trampoline_kernelINS0_14default_configENS1_22reduce_config_selectorIN6thrust23THRUST_200600_302600_NS5tupleIbffNS6_9null_typeES8_S8_S8_S8_S8_S8_EEEEZNS1_11reduce_implILb1ES3_PS9_SC_S9_12reduce_tupleIifEEE10hipError_tPvRmT1_T2_T3_mT4_P12ihipStream_tbEUlT_E0_NS1_11comp_targetILNS1_3genE10ELNS1_11target_archE1201ELNS1_3gpuE5ELNS1_3repE0EEENS1_30default_config_static_selectorELNS0_4arch9wavefront6targetE0EEEvSI_ ; -- Begin function _ZN7rocprim17ROCPRIM_400000_NS6detail17trampoline_kernelINS0_14default_configENS1_22reduce_config_selectorIN6thrust23THRUST_200600_302600_NS5tupleIbffNS6_9null_typeES8_S8_S8_S8_S8_S8_EEEEZNS1_11reduce_implILb1ES3_PS9_SC_S9_12reduce_tupleIifEEE10hipError_tPvRmT1_T2_T3_mT4_P12ihipStream_tbEUlT_E0_NS1_11comp_targetILNS1_3genE10ELNS1_11target_archE1201ELNS1_3gpuE5ELNS1_3repE0EEENS1_30default_config_static_selectorELNS0_4arch9wavefront6targetE0EEEvSI_
	.globl	_ZN7rocprim17ROCPRIM_400000_NS6detail17trampoline_kernelINS0_14default_configENS1_22reduce_config_selectorIN6thrust23THRUST_200600_302600_NS5tupleIbffNS6_9null_typeES8_S8_S8_S8_S8_S8_EEEEZNS1_11reduce_implILb1ES3_PS9_SC_S9_12reduce_tupleIifEEE10hipError_tPvRmT1_T2_T3_mT4_P12ihipStream_tbEUlT_E0_NS1_11comp_targetILNS1_3genE10ELNS1_11target_archE1201ELNS1_3gpuE5ELNS1_3repE0EEENS1_30default_config_static_selectorELNS0_4arch9wavefront6targetE0EEEvSI_
	.p2align	8
	.type	_ZN7rocprim17ROCPRIM_400000_NS6detail17trampoline_kernelINS0_14default_configENS1_22reduce_config_selectorIN6thrust23THRUST_200600_302600_NS5tupleIbffNS6_9null_typeES8_S8_S8_S8_S8_S8_EEEEZNS1_11reduce_implILb1ES3_PS9_SC_S9_12reduce_tupleIifEEE10hipError_tPvRmT1_T2_T3_mT4_P12ihipStream_tbEUlT_E0_NS1_11comp_targetILNS1_3genE10ELNS1_11target_archE1201ELNS1_3gpuE5ELNS1_3repE0EEENS1_30default_config_static_selectorELNS0_4arch9wavefront6targetE0EEEvSI_,@function
_ZN7rocprim17ROCPRIM_400000_NS6detail17trampoline_kernelINS0_14default_configENS1_22reduce_config_selectorIN6thrust23THRUST_200600_302600_NS5tupleIbffNS6_9null_typeES8_S8_S8_S8_S8_S8_EEEEZNS1_11reduce_implILb1ES3_PS9_SC_S9_12reduce_tupleIifEEE10hipError_tPvRmT1_T2_T3_mT4_P12ihipStream_tbEUlT_E0_NS1_11comp_targetILNS1_3genE10ELNS1_11target_archE1201ELNS1_3gpuE5ELNS1_3repE0EEENS1_30default_config_static_selectorELNS0_4arch9wavefront6targetE0EEEvSI_: ; @_ZN7rocprim17ROCPRIM_400000_NS6detail17trampoline_kernelINS0_14default_configENS1_22reduce_config_selectorIN6thrust23THRUST_200600_302600_NS5tupleIbffNS6_9null_typeES8_S8_S8_S8_S8_S8_EEEEZNS1_11reduce_implILb1ES3_PS9_SC_S9_12reduce_tupleIifEEE10hipError_tPvRmT1_T2_T3_mT4_P12ihipStream_tbEUlT_E0_NS1_11comp_targetILNS1_3genE10ELNS1_11target_archE1201ELNS1_3gpuE5ELNS1_3repE0EEENS1_30default_config_static_selectorELNS0_4arch9wavefront6targetE0EEEvSI_
; %bb.0:
	.section	.rodata,"a",@progbits
	.p2align	6, 0x0
	.amdhsa_kernel _ZN7rocprim17ROCPRIM_400000_NS6detail17trampoline_kernelINS0_14default_configENS1_22reduce_config_selectorIN6thrust23THRUST_200600_302600_NS5tupleIbffNS6_9null_typeES8_S8_S8_S8_S8_S8_EEEEZNS1_11reduce_implILb1ES3_PS9_SC_S9_12reduce_tupleIifEEE10hipError_tPvRmT1_T2_T3_mT4_P12ihipStream_tbEUlT_E0_NS1_11comp_targetILNS1_3genE10ELNS1_11target_archE1201ELNS1_3gpuE5ELNS1_3repE0EEENS1_30default_config_static_selectorELNS0_4arch9wavefront6targetE0EEEvSI_
		.amdhsa_group_segment_fixed_size 0
		.amdhsa_private_segment_fixed_size 0
		.amdhsa_kernarg_size 64
		.amdhsa_user_sgpr_count 15
		.amdhsa_user_sgpr_dispatch_ptr 0
		.amdhsa_user_sgpr_queue_ptr 0
		.amdhsa_user_sgpr_kernarg_segment_ptr 1
		.amdhsa_user_sgpr_dispatch_id 0
		.amdhsa_user_sgpr_private_segment_size 0
		.amdhsa_wavefront_size32 1
		.amdhsa_uses_dynamic_stack 0
		.amdhsa_enable_private_segment 0
		.amdhsa_system_sgpr_workgroup_id_x 1
		.amdhsa_system_sgpr_workgroup_id_y 0
		.amdhsa_system_sgpr_workgroup_id_z 0
		.amdhsa_system_sgpr_workgroup_info 0
		.amdhsa_system_vgpr_workitem_id 0
		.amdhsa_next_free_vgpr 1
		.amdhsa_next_free_sgpr 1
		.amdhsa_reserve_vcc 0
		.amdhsa_float_round_mode_32 0
		.amdhsa_float_round_mode_16_64 0
		.amdhsa_float_denorm_mode_32 3
		.amdhsa_float_denorm_mode_16_64 3
		.amdhsa_dx10_clamp 1
		.amdhsa_ieee_mode 1
		.amdhsa_fp16_overflow 0
		.amdhsa_workgroup_processor_mode 1
		.amdhsa_memory_ordered 1
		.amdhsa_forward_progress 0
		.amdhsa_shared_vgpr_count 0
		.amdhsa_exception_fp_ieee_invalid_op 0
		.amdhsa_exception_fp_denorm_src 0
		.amdhsa_exception_fp_ieee_div_zero 0
		.amdhsa_exception_fp_ieee_overflow 0
		.amdhsa_exception_fp_ieee_underflow 0
		.amdhsa_exception_fp_ieee_inexact 0
		.amdhsa_exception_int_div_zero 0
	.end_amdhsa_kernel
	.section	.text._ZN7rocprim17ROCPRIM_400000_NS6detail17trampoline_kernelINS0_14default_configENS1_22reduce_config_selectorIN6thrust23THRUST_200600_302600_NS5tupleIbffNS6_9null_typeES8_S8_S8_S8_S8_S8_EEEEZNS1_11reduce_implILb1ES3_PS9_SC_S9_12reduce_tupleIifEEE10hipError_tPvRmT1_T2_T3_mT4_P12ihipStream_tbEUlT_E0_NS1_11comp_targetILNS1_3genE10ELNS1_11target_archE1201ELNS1_3gpuE5ELNS1_3repE0EEENS1_30default_config_static_selectorELNS0_4arch9wavefront6targetE0EEEvSI_,"axG",@progbits,_ZN7rocprim17ROCPRIM_400000_NS6detail17trampoline_kernelINS0_14default_configENS1_22reduce_config_selectorIN6thrust23THRUST_200600_302600_NS5tupleIbffNS6_9null_typeES8_S8_S8_S8_S8_S8_EEEEZNS1_11reduce_implILb1ES3_PS9_SC_S9_12reduce_tupleIifEEE10hipError_tPvRmT1_T2_T3_mT4_P12ihipStream_tbEUlT_E0_NS1_11comp_targetILNS1_3genE10ELNS1_11target_archE1201ELNS1_3gpuE5ELNS1_3repE0EEENS1_30default_config_static_selectorELNS0_4arch9wavefront6targetE0EEEvSI_,comdat
.Lfunc_end6:
	.size	_ZN7rocprim17ROCPRIM_400000_NS6detail17trampoline_kernelINS0_14default_configENS1_22reduce_config_selectorIN6thrust23THRUST_200600_302600_NS5tupleIbffNS6_9null_typeES8_S8_S8_S8_S8_S8_EEEEZNS1_11reduce_implILb1ES3_PS9_SC_S9_12reduce_tupleIifEEE10hipError_tPvRmT1_T2_T3_mT4_P12ihipStream_tbEUlT_E0_NS1_11comp_targetILNS1_3genE10ELNS1_11target_archE1201ELNS1_3gpuE5ELNS1_3repE0EEENS1_30default_config_static_selectorELNS0_4arch9wavefront6targetE0EEEvSI_, .Lfunc_end6-_ZN7rocprim17ROCPRIM_400000_NS6detail17trampoline_kernelINS0_14default_configENS1_22reduce_config_selectorIN6thrust23THRUST_200600_302600_NS5tupleIbffNS6_9null_typeES8_S8_S8_S8_S8_S8_EEEEZNS1_11reduce_implILb1ES3_PS9_SC_S9_12reduce_tupleIifEEE10hipError_tPvRmT1_T2_T3_mT4_P12ihipStream_tbEUlT_E0_NS1_11comp_targetILNS1_3genE10ELNS1_11target_archE1201ELNS1_3gpuE5ELNS1_3repE0EEENS1_30default_config_static_selectorELNS0_4arch9wavefront6targetE0EEEvSI_
                                        ; -- End function
	.section	.AMDGPU.csdata,"",@progbits
; Kernel info:
; codeLenInByte = 0
; NumSgprs: 0
; NumVgprs: 0
; ScratchSize: 0
; MemoryBound: 0
; FloatMode: 240
; IeeeMode: 1
; LDSByteSize: 0 bytes/workgroup (compile time only)
; SGPRBlocks: 0
; VGPRBlocks: 0
; NumSGPRsForWavesPerEU: 1
; NumVGPRsForWavesPerEU: 1
; Occupancy: 16
; WaveLimiterHint : 0
; COMPUTE_PGM_RSRC2:SCRATCH_EN: 0
; COMPUTE_PGM_RSRC2:USER_SGPR: 15
; COMPUTE_PGM_RSRC2:TRAP_HANDLER: 0
; COMPUTE_PGM_RSRC2:TGID_X_EN: 1
; COMPUTE_PGM_RSRC2:TGID_Y_EN: 0
; COMPUTE_PGM_RSRC2:TGID_Z_EN: 0
; COMPUTE_PGM_RSRC2:TIDIG_COMP_CNT: 0
	.section	.text._ZN7rocprim17ROCPRIM_400000_NS6detail17trampoline_kernelINS0_14default_configENS1_22reduce_config_selectorIN6thrust23THRUST_200600_302600_NS5tupleIbffNS6_9null_typeES8_S8_S8_S8_S8_S8_EEEEZNS1_11reduce_implILb1ES3_PS9_SC_S9_12reduce_tupleIifEEE10hipError_tPvRmT1_T2_T3_mT4_P12ihipStream_tbEUlT_E0_NS1_11comp_targetILNS1_3genE10ELNS1_11target_archE1200ELNS1_3gpuE4ELNS1_3repE0EEENS1_30default_config_static_selectorELNS0_4arch9wavefront6targetE0EEEvSI_,"axG",@progbits,_ZN7rocprim17ROCPRIM_400000_NS6detail17trampoline_kernelINS0_14default_configENS1_22reduce_config_selectorIN6thrust23THRUST_200600_302600_NS5tupleIbffNS6_9null_typeES8_S8_S8_S8_S8_S8_EEEEZNS1_11reduce_implILb1ES3_PS9_SC_S9_12reduce_tupleIifEEE10hipError_tPvRmT1_T2_T3_mT4_P12ihipStream_tbEUlT_E0_NS1_11comp_targetILNS1_3genE10ELNS1_11target_archE1200ELNS1_3gpuE4ELNS1_3repE0EEENS1_30default_config_static_selectorELNS0_4arch9wavefront6targetE0EEEvSI_,comdat
	.protected	_ZN7rocprim17ROCPRIM_400000_NS6detail17trampoline_kernelINS0_14default_configENS1_22reduce_config_selectorIN6thrust23THRUST_200600_302600_NS5tupleIbffNS6_9null_typeES8_S8_S8_S8_S8_S8_EEEEZNS1_11reduce_implILb1ES3_PS9_SC_S9_12reduce_tupleIifEEE10hipError_tPvRmT1_T2_T3_mT4_P12ihipStream_tbEUlT_E0_NS1_11comp_targetILNS1_3genE10ELNS1_11target_archE1200ELNS1_3gpuE4ELNS1_3repE0EEENS1_30default_config_static_selectorELNS0_4arch9wavefront6targetE0EEEvSI_ ; -- Begin function _ZN7rocprim17ROCPRIM_400000_NS6detail17trampoline_kernelINS0_14default_configENS1_22reduce_config_selectorIN6thrust23THRUST_200600_302600_NS5tupleIbffNS6_9null_typeES8_S8_S8_S8_S8_S8_EEEEZNS1_11reduce_implILb1ES3_PS9_SC_S9_12reduce_tupleIifEEE10hipError_tPvRmT1_T2_T3_mT4_P12ihipStream_tbEUlT_E0_NS1_11comp_targetILNS1_3genE10ELNS1_11target_archE1200ELNS1_3gpuE4ELNS1_3repE0EEENS1_30default_config_static_selectorELNS0_4arch9wavefront6targetE0EEEvSI_
	.globl	_ZN7rocprim17ROCPRIM_400000_NS6detail17trampoline_kernelINS0_14default_configENS1_22reduce_config_selectorIN6thrust23THRUST_200600_302600_NS5tupleIbffNS6_9null_typeES8_S8_S8_S8_S8_S8_EEEEZNS1_11reduce_implILb1ES3_PS9_SC_S9_12reduce_tupleIifEEE10hipError_tPvRmT1_T2_T3_mT4_P12ihipStream_tbEUlT_E0_NS1_11comp_targetILNS1_3genE10ELNS1_11target_archE1200ELNS1_3gpuE4ELNS1_3repE0EEENS1_30default_config_static_selectorELNS0_4arch9wavefront6targetE0EEEvSI_
	.p2align	8
	.type	_ZN7rocprim17ROCPRIM_400000_NS6detail17trampoline_kernelINS0_14default_configENS1_22reduce_config_selectorIN6thrust23THRUST_200600_302600_NS5tupleIbffNS6_9null_typeES8_S8_S8_S8_S8_S8_EEEEZNS1_11reduce_implILb1ES3_PS9_SC_S9_12reduce_tupleIifEEE10hipError_tPvRmT1_T2_T3_mT4_P12ihipStream_tbEUlT_E0_NS1_11comp_targetILNS1_3genE10ELNS1_11target_archE1200ELNS1_3gpuE4ELNS1_3repE0EEENS1_30default_config_static_selectorELNS0_4arch9wavefront6targetE0EEEvSI_,@function
_ZN7rocprim17ROCPRIM_400000_NS6detail17trampoline_kernelINS0_14default_configENS1_22reduce_config_selectorIN6thrust23THRUST_200600_302600_NS5tupleIbffNS6_9null_typeES8_S8_S8_S8_S8_S8_EEEEZNS1_11reduce_implILb1ES3_PS9_SC_S9_12reduce_tupleIifEEE10hipError_tPvRmT1_T2_T3_mT4_P12ihipStream_tbEUlT_E0_NS1_11comp_targetILNS1_3genE10ELNS1_11target_archE1200ELNS1_3gpuE4ELNS1_3repE0EEENS1_30default_config_static_selectorELNS0_4arch9wavefront6targetE0EEEvSI_: ; @_ZN7rocprim17ROCPRIM_400000_NS6detail17trampoline_kernelINS0_14default_configENS1_22reduce_config_selectorIN6thrust23THRUST_200600_302600_NS5tupleIbffNS6_9null_typeES8_S8_S8_S8_S8_S8_EEEEZNS1_11reduce_implILb1ES3_PS9_SC_S9_12reduce_tupleIifEEE10hipError_tPvRmT1_T2_T3_mT4_P12ihipStream_tbEUlT_E0_NS1_11comp_targetILNS1_3genE10ELNS1_11target_archE1200ELNS1_3gpuE4ELNS1_3repE0EEENS1_30default_config_static_selectorELNS0_4arch9wavefront6targetE0EEEvSI_
; %bb.0:
	.section	.rodata,"a",@progbits
	.p2align	6, 0x0
	.amdhsa_kernel _ZN7rocprim17ROCPRIM_400000_NS6detail17trampoline_kernelINS0_14default_configENS1_22reduce_config_selectorIN6thrust23THRUST_200600_302600_NS5tupleIbffNS6_9null_typeES8_S8_S8_S8_S8_S8_EEEEZNS1_11reduce_implILb1ES3_PS9_SC_S9_12reduce_tupleIifEEE10hipError_tPvRmT1_T2_T3_mT4_P12ihipStream_tbEUlT_E0_NS1_11comp_targetILNS1_3genE10ELNS1_11target_archE1200ELNS1_3gpuE4ELNS1_3repE0EEENS1_30default_config_static_selectorELNS0_4arch9wavefront6targetE0EEEvSI_
		.amdhsa_group_segment_fixed_size 0
		.amdhsa_private_segment_fixed_size 0
		.amdhsa_kernarg_size 64
		.amdhsa_user_sgpr_count 15
		.amdhsa_user_sgpr_dispatch_ptr 0
		.amdhsa_user_sgpr_queue_ptr 0
		.amdhsa_user_sgpr_kernarg_segment_ptr 1
		.amdhsa_user_sgpr_dispatch_id 0
		.amdhsa_user_sgpr_private_segment_size 0
		.amdhsa_wavefront_size32 1
		.amdhsa_uses_dynamic_stack 0
		.amdhsa_enable_private_segment 0
		.amdhsa_system_sgpr_workgroup_id_x 1
		.amdhsa_system_sgpr_workgroup_id_y 0
		.amdhsa_system_sgpr_workgroup_id_z 0
		.amdhsa_system_sgpr_workgroup_info 0
		.amdhsa_system_vgpr_workitem_id 0
		.amdhsa_next_free_vgpr 1
		.amdhsa_next_free_sgpr 1
		.amdhsa_reserve_vcc 0
		.amdhsa_float_round_mode_32 0
		.amdhsa_float_round_mode_16_64 0
		.amdhsa_float_denorm_mode_32 3
		.amdhsa_float_denorm_mode_16_64 3
		.amdhsa_dx10_clamp 1
		.amdhsa_ieee_mode 1
		.amdhsa_fp16_overflow 0
		.amdhsa_workgroup_processor_mode 1
		.amdhsa_memory_ordered 1
		.amdhsa_forward_progress 0
		.amdhsa_shared_vgpr_count 0
		.amdhsa_exception_fp_ieee_invalid_op 0
		.amdhsa_exception_fp_denorm_src 0
		.amdhsa_exception_fp_ieee_div_zero 0
		.amdhsa_exception_fp_ieee_overflow 0
		.amdhsa_exception_fp_ieee_underflow 0
		.amdhsa_exception_fp_ieee_inexact 0
		.amdhsa_exception_int_div_zero 0
	.end_amdhsa_kernel
	.section	.text._ZN7rocprim17ROCPRIM_400000_NS6detail17trampoline_kernelINS0_14default_configENS1_22reduce_config_selectorIN6thrust23THRUST_200600_302600_NS5tupleIbffNS6_9null_typeES8_S8_S8_S8_S8_S8_EEEEZNS1_11reduce_implILb1ES3_PS9_SC_S9_12reduce_tupleIifEEE10hipError_tPvRmT1_T2_T3_mT4_P12ihipStream_tbEUlT_E0_NS1_11comp_targetILNS1_3genE10ELNS1_11target_archE1200ELNS1_3gpuE4ELNS1_3repE0EEENS1_30default_config_static_selectorELNS0_4arch9wavefront6targetE0EEEvSI_,"axG",@progbits,_ZN7rocprim17ROCPRIM_400000_NS6detail17trampoline_kernelINS0_14default_configENS1_22reduce_config_selectorIN6thrust23THRUST_200600_302600_NS5tupleIbffNS6_9null_typeES8_S8_S8_S8_S8_S8_EEEEZNS1_11reduce_implILb1ES3_PS9_SC_S9_12reduce_tupleIifEEE10hipError_tPvRmT1_T2_T3_mT4_P12ihipStream_tbEUlT_E0_NS1_11comp_targetILNS1_3genE10ELNS1_11target_archE1200ELNS1_3gpuE4ELNS1_3repE0EEENS1_30default_config_static_selectorELNS0_4arch9wavefront6targetE0EEEvSI_,comdat
.Lfunc_end7:
	.size	_ZN7rocprim17ROCPRIM_400000_NS6detail17trampoline_kernelINS0_14default_configENS1_22reduce_config_selectorIN6thrust23THRUST_200600_302600_NS5tupleIbffNS6_9null_typeES8_S8_S8_S8_S8_S8_EEEEZNS1_11reduce_implILb1ES3_PS9_SC_S9_12reduce_tupleIifEEE10hipError_tPvRmT1_T2_T3_mT4_P12ihipStream_tbEUlT_E0_NS1_11comp_targetILNS1_3genE10ELNS1_11target_archE1200ELNS1_3gpuE4ELNS1_3repE0EEENS1_30default_config_static_selectorELNS0_4arch9wavefront6targetE0EEEvSI_, .Lfunc_end7-_ZN7rocprim17ROCPRIM_400000_NS6detail17trampoline_kernelINS0_14default_configENS1_22reduce_config_selectorIN6thrust23THRUST_200600_302600_NS5tupleIbffNS6_9null_typeES8_S8_S8_S8_S8_S8_EEEEZNS1_11reduce_implILb1ES3_PS9_SC_S9_12reduce_tupleIifEEE10hipError_tPvRmT1_T2_T3_mT4_P12ihipStream_tbEUlT_E0_NS1_11comp_targetILNS1_3genE10ELNS1_11target_archE1200ELNS1_3gpuE4ELNS1_3repE0EEENS1_30default_config_static_selectorELNS0_4arch9wavefront6targetE0EEEvSI_
                                        ; -- End function
	.section	.AMDGPU.csdata,"",@progbits
; Kernel info:
; codeLenInByte = 0
; NumSgprs: 0
; NumVgprs: 0
; ScratchSize: 0
; MemoryBound: 0
; FloatMode: 240
; IeeeMode: 1
; LDSByteSize: 0 bytes/workgroup (compile time only)
; SGPRBlocks: 0
; VGPRBlocks: 0
; NumSGPRsForWavesPerEU: 1
; NumVGPRsForWavesPerEU: 1
; Occupancy: 16
; WaveLimiterHint : 0
; COMPUTE_PGM_RSRC2:SCRATCH_EN: 0
; COMPUTE_PGM_RSRC2:USER_SGPR: 15
; COMPUTE_PGM_RSRC2:TRAP_HANDLER: 0
; COMPUTE_PGM_RSRC2:TGID_X_EN: 1
; COMPUTE_PGM_RSRC2:TGID_Y_EN: 0
; COMPUTE_PGM_RSRC2:TGID_Z_EN: 0
; COMPUTE_PGM_RSRC2:TIDIG_COMP_CNT: 0
	.section	.text._ZN7rocprim17ROCPRIM_400000_NS6detail17trampoline_kernelINS0_14default_configENS1_22reduce_config_selectorIN6thrust23THRUST_200600_302600_NS5tupleIbffNS6_9null_typeES8_S8_S8_S8_S8_S8_EEEEZNS1_11reduce_implILb1ES3_PS9_SC_S9_12reduce_tupleIifEEE10hipError_tPvRmT1_T2_T3_mT4_P12ihipStream_tbEUlT_E0_NS1_11comp_targetILNS1_3genE9ELNS1_11target_archE1100ELNS1_3gpuE3ELNS1_3repE0EEENS1_30default_config_static_selectorELNS0_4arch9wavefront6targetE0EEEvSI_,"axG",@progbits,_ZN7rocprim17ROCPRIM_400000_NS6detail17trampoline_kernelINS0_14default_configENS1_22reduce_config_selectorIN6thrust23THRUST_200600_302600_NS5tupleIbffNS6_9null_typeES8_S8_S8_S8_S8_S8_EEEEZNS1_11reduce_implILb1ES3_PS9_SC_S9_12reduce_tupleIifEEE10hipError_tPvRmT1_T2_T3_mT4_P12ihipStream_tbEUlT_E0_NS1_11comp_targetILNS1_3genE9ELNS1_11target_archE1100ELNS1_3gpuE3ELNS1_3repE0EEENS1_30default_config_static_selectorELNS0_4arch9wavefront6targetE0EEEvSI_,comdat
	.protected	_ZN7rocprim17ROCPRIM_400000_NS6detail17trampoline_kernelINS0_14default_configENS1_22reduce_config_selectorIN6thrust23THRUST_200600_302600_NS5tupleIbffNS6_9null_typeES8_S8_S8_S8_S8_S8_EEEEZNS1_11reduce_implILb1ES3_PS9_SC_S9_12reduce_tupleIifEEE10hipError_tPvRmT1_T2_T3_mT4_P12ihipStream_tbEUlT_E0_NS1_11comp_targetILNS1_3genE9ELNS1_11target_archE1100ELNS1_3gpuE3ELNS1_3repE0EEENS1_30default_config_static_selectorELNS0_4arch9wavefront6targetE0EEEvSI_ ; -- Begin function _ZN7rocprim17ROCPRIM_400000_NS6detail17trampoline_kernelINS0_14default_configENS1_22reduce_config_selectorIN6thrust23THRUST_200600_302600_NS5tupleIbffNS6_9null_typeES8_S8_S8_S8_S8_S8_EEEEZNS1_11reduce_implILb1ES3_PS9_SC_S9_12reduce_tupleIifEEE10hipError_tPvRmT1_T2_T3_mT4_P12ihipStream_tbEUlT_E0_NS1_11comp_targetILNS1_3genE9ELNS1_11target_archE1100ELNS1_3gpuE3ELNS1_3repE0EEENS1_30default_config_static_selectorELNS0_4arch9wavefront6targetE0EEEvSI_
	.globl	_ZN7rocprim17ROCPRIM_400000_NS6detail17trampoline_kernelINS0_14default_configENS1_22reduce_config_selectorIN6thrust23THRUST_200600_302600_NS5tupleIbffNS6_9null_typeES8_S8_S8_S8_S8_S8_EEEEZNS1_11reduce_implILb1ES3_PS9_SC_S9_12reduce_tupleIifEEE10hipError_tPvRmT1_T2_T3_mT4_P12ihipStream_tbEUlT_E0_NS1_11comp_targetILNS1_3genE9ELNS1_11target_archE1100ELNS1_3gpuE3ELNS1_3repE0EEENS1_30default_config_static_selectorELNS0_4arch9wavefront6targetE0EEEvSI_
	.p2align	8
	.type	_ZN7rocprim17ROCPRIM_400000_NS6detail17trampoline_kernelINS0_14default_configENS1_22reduce_config_selectorIN6thrust23THRUST_200600_302600_NS5tupleIbffNS6_9null_typeES8_S8_S8_S8_S8_S8_EEEEZNS1_11reduce_implILb1ES3_PS9_SC_S9_12reduce_tupleIifEEE10hipError_tPvRmT1_T2_T3_mT4_P12ihipStream_tbEUlT_E0_NS1_11comp_targetILNS1_3genE9ELNS1_11target_archE1100ELNS1_3gpuE3ELNS1_3repE0EEENS1_30default_config_static_selectorELNS0_4arch9wavefront6targetE0EEEvSI_,@function
_ZN7rocprim17ROCPRIM_400000_NS6detail17trampoline_kernelINS0_14default_configENS1_22reduce_config_selectorIN6thrust23THRUST_200600_302600_NS5tupleIbffNS6_9null_typeES8_S8_S8_S8_S8_S8_EEEEZNS1_11reduce_implILb1ES3_PS9_SC_S9_12reduce_tupleIifEEE10hipError_tPvRmT1_T2_T3_mT4_P12ihipStream_tbEUlT_E0_NS1_11comp_targetILNS1_3genE9ELNS1_11target_archE1100ELNS1_3gpuE3ELNS1_3repE0EEENS1_30default_config_static_selectorELNS0_4arch9wavefront6targetE0EEEvSI_: ; @_ZN7rocprim17ROCPRIM_400000_NS6detail17trampoline_kernelINS0_14default_configENS1_22reduce_config_selectorIN6thrust23THRUST_200600_302600_NS5tupleIbffNS6_9null_typeES8_S8_S8_S8_S8_S8_EEEEZNS1_11reduce_implILb1ES3_PS9_SC_S9_12reduce_tupleIifEEE10hipError_tPvRmT1_T2_T3_mT4_P12ihipStream_tbEUlT_E0_NS1_11comp_targetILNS1_3genE9ELNS1_11target_archE1100ELNS1_3gpuE3ELNS1_3repE0EEENS1_30default_config_static_selectorELNS0_4arch9wavefront6targetE0EEEvSI_
; %bb.0:
	s_mov_b32 s16, s15
	s_clause 0x1
	s_load_b256 s[4:11], s[0:1], 0x0
	s_load_b128 s[12:15], s[0:1], 0x20
	s_mov_b32 s17, 0
	s_waitcnt lgkmcnt(0)
	s_mul_i32 s2, s7, 12
	s_mul_hi_u32 s3, s6, 12
	s_mul_i32 s6, s6, 12
	s_add_i32 s3, s3, s2
	s_add_u32 s6, s4, s6
	s_addc_u32 s3, s5, s3
	s_lshl_b32 s2, s16, 10
	s_mul_i32 s7, s16, 0x3000
	s_lshr_b64 s[4:5], s[8:9], 10
	s_mul_hi_u32 s18, s2, 12
	s_add_u32 s6, s6, s7
	s_addc_u32 s7, s3, s18
	s_cmp_lg_u64 s[4:5], s[16:17]
	s_cbranch_scc0 .LBB8_50
; %bb.1:
	v_mad_u64_u32 v[7:8], null, v0, 12, s[6:7]
	s_mov_b32 s3, exec_lo
	s_delay_alu instid0(VALU_DEP_1) | instskip(NEXT) | instid1(VALU_DEP_2)
	v_add_co_u32 v1, vcc_lo, 0x1000, v7
	v_add_co_ci_u32_e32 v2, vcc_lo, 0, v8, vcc_lo
	v_add_co_u32 v13, vcc_lo, 0x2000, v7
	global_load_u8 v12, v[7:8], off
	v_add_co_ci_u32_e32 v14, vcc_lo, 0, v8, vcc_lo
	s_clause 0x5
	global_load_u8 v11, v[7:8], off offset:3072
	global_load_b64 v[5:6], v[7:8], off offset:3076
	global_load_u8 v10, v[1:2], off offset:2048
	global_load_b64 v[3:4], v[1:2], off offset:2052
	;; [unrolled: 2-line block ×3, first 2 shown]
	s_waitcnt vmcnt(6)
	v_and_b32_e32 v13, 1, v12
	s_delay_alu instid0(VALU_DEP_1)
	v_cmpx_eq_u32_e32 1, v13
	s_cbranch_execz .LBB8_5
; %bb.2:
	global_load_b64 v[7:8], v[7:8], off offset:4
	s_waitcnt vmcnt(6)
	v_and_b32_e32 v11, 1, v11
	s_mov_b32 s4, exec_lo
	s_delay_alu instid0(VALU_DEP_1)
	v_cmpx_eq_u32_e32 1, v11
	s_cbranch_execz .LBB8_4
; %bb.3:
	s_waitcnt vmcnt(0)
	v_cmp_lt_f32_e32 vcc_lo, v8, v6
	v_mov_b32_e32 v12, 1
	v_cndmask_b32_e32 v8, v8, v6, vcc_lo
	v_cmp_lt_f32_e32 vcc_lo, v5, v7
	v_cndmask_b32_e32 v7, v7, v5, vcc_lo
.LBB8_4:
	s_or_b32 exec_lo, exec_lo, s4
	v_mov_b32_e32 v11, v12
	s_waitcnt vmcnt(0)
	s_delay_alu instid0(VALU_DEP_2)
	v_dual_mov_b32 v5, v7 :: v_dual_mov_b32 v6, v8
.LBB8_5:
	s_or_b32 exec_lo, exec_lo, s3
	s_waitcnt vmcnt(5)
	v_and_b32_e32 v7, 1, v11
	s_mov_b32 s3, exec_lo
	s_delay_alu instid0(VALU_DEP_1)
	v_cmpx_eq_u32_e32 1, v7
	s_cbranch_execz .LBB8_9
; %bb.6:
	s_waitcnt vmcnt(3)
	v_and_b32_e32 v7, 1, v10
	s_mov_b32 s4, exec_lo
	s_delay_alu instid0(VALU_DEP_1)
	v_cmpx_eq_u32_e32 1, v7
	s_cbranch_execz .LBB8_8
; %bb.7:
	s_waitcnt vmcnt(2)
	v_cmp_lt_f32_e32 vcc_lo, v6, v4
	v_dual_mov_b32 v11, 1 :: v_dual_cndmask_b32 v6, v6, v4
	v_cmp_lt_f32_e32 vcc_lo, v3, v5
	v_cndmask_b32_e32 v5, v5, v3, vcc_lo
.LBB8_8:
	s_or_b32 exec_lo, exec_lo, s4
	s_waitcnt vmcnt(2)
	s_delay_alu instid0(VALU_DEP_1)
	v_dual_mov_b32 v10, v11 :: v_dual_mov_b32 v3, v5
	v_mov_b32_e32 v4, v6
.LBB8_9:
	s_or_b32 exec_lo, exec_lo, s3
	s_waitcnt vmcnt(3)
	s_delay_alu instid0(VALU_DEP_2) | instskip(SKIP_1) | instid1(VALU_DEP_1)
	v_and_b32_e32 v5, 1, v10
	s_mov_b32 s3, exec_lo
	v_cmpx_eq_u32_e32 1, v5
	s_cbranch_execz .LBB8_13
; %bb.10:
	s_waitcnt vmcnt(1)
	v_and_b32_e32 v5, 1, v9
	s_mov_b32 s4, exec_lo
	s_delay_alu instid0(VALU_DEP_1)
	v_cmpx_eq_u32_e32 1, v5
	s_cbranch_execz .LBB8_12
; %bb.11:
	s_waitcnt vmcnt(0)
	v_cmp_lt_f32_e32 vcc_lo, v4, v2
	v_mov_b32_e32 v10, 1
	v_cndmask_b32_e32 v4, v4, v2, vcc_lo
	v_cmp_lt_f32_e32 vcc_lo, v1, v3
	v_cndmask_b32_e32 v3, v3, v1, vcc_lo
.LBB8_12:
	s_or_b32 exec_lo, exec_lo, s4
	s_waitcnt vmcnt(0)
	v_dual_mov_b32 v9, v10 :: v_dual_mov_b32 v2, v4
	s_delay_alu instid0(VALU_DEP_2)
	v_mov_b32_e32 v1, v3
.LBB8_13:
	s_or_b32 exec_lo, exec_lo, s3
	s_waitcnt vmcnt(1)
	s_delay_alu instid0(VALU_DEP_2) | instskip(SKIP_3) | instid1(VALU_DEP_2)
	v_and_b32_e32 v3, 0xff, v9
	s_waitcnt vmcnt(0)
	v_mov_b32_dpp v4, v1 quad_perm:[1,0,3,2] row_mask:0xf bank_mask:0xf
	s_mov_b32 s3, exec_lo
	v_mov_b32_dpp v5, v3 quad_perm:[1,0,3,2] row_mask:0xf bank_mask:0xf
	v_mov_b32_dpp v3, v2 quad_perm:[1,0,3,2] row_mask:0xf bank_mask:0xf
	s_delay_alu instid0(VALU_DEP_2) | instskip(NEXT) | instid1(VALU_DEP_1)
	v_and_b32_e32 v6, 1, v5
	v_cmpx_eq_u32_e32 1, v6
	s_xor_b32 s3, exec_lo, s3
	s_cbranch_execz .LBB8_17
; %bb.14:
	v_and_b32_e32 v6, 1, v9
	s_mov_b32 s4, exec_lo
	s_delay_alu instid0(VALU_DEP_1)
	v_cmpx_eq_u32_e32 1, v6
; %bb.15:
	v_cmp_lt_f32_e32 vcc_lo, v1, v4
	v_dual_mov_b32 v5, 1 :: v_dual_cndmask_b32 v4, v4, v1
	v_cmp_gt_f32_e32 vcc_lo, v2, v3
	v_cndmask_b32_e32 v3, v3, v2, vcc_lo
; %bb.16:
	s_or_b32 exec_lo, exec_lo, s4
	s_delay_alu instid0(VALU_DEP_1)
	v_dual_mov_b32 v9, v5 :: v_dual_mov_b32 v2, v3
	v_mov_b32_e32 v1, v4
.LBB8_17:
	s_or_b32 exec_lo, exec_lo, s3
	s_delay_alu instid0(VALU_DEP_2) | instskip(NEXT) | instid1(VALU_DEP_2)
	v_and_b32_e32 v3, 0xff, v9
	v_mov_b32_dpp v4, v1 quad_perm:[2,3,0,1] row_mask:0xf bank_mask:0xf
	s_mov_b32 s3, exec_lo
	s_delay_alu instid0(VALU_DEP_2) | instskip(SKIP_1) | instid1(VALU_DEP_2)
	v_mov_b32_dpp v5, v3 quad_perm:[2,3,0,1] row_mask:0xf bank_mask:0xf
	v_mov_b32_dpp v3, v2 quad_perm:[2,3,0,1] row_mask:0xf bank_mask:0xf
	v_and_b32_e32 v6, 1, v5
	s_delay_alu instid0(VALU_DEP_1)
	v_cmpx_eq_u32_e32 1, v6
	s_cbranch_execz .LBB8_21
; %bb.18:
	v_and_b32_e32 v6, 1, v9
	s_mov_b32 s4, exec_lo
	s_delay_alu instid0(VALU_DEP_1)
	v_cmpx_eq_u32_e32 1, v6
; %bb.19:
	v_cmp_lt_f32_e32 vcc_lo, v1, v4
	v_dual_mov_b32 v5, 1 :: v_dual_cndmask_b32 v4, v4, v1
	v_cmp_gt_f32_e32 vcc_lo, v2, v3
	v_cndmask_b32_e32 v3, v3, v2, vcc_lo
; %bb.20:
	s_or_b32 exec_lo, exec_lo, s4
	s_delay_alu instid0(VALU_DEP_1)
	v_dual_mov_b32 v9, v5 :: v_dual_mov_b32 v2, v3
	v_mov_b32_e32 v1, v4
.LBB8_21:
	s_or_b32 exec_lo, exec_lo, s3
	s_delay_alu instid0(VALU_DEP_2) | instskip(NEXT) | instid1(VALU_DEP_2)
	v_and_b32_e32 v3, 0xff, v9
	v_mov_b32_dpp v4, v1 row_ror:4 row_mask:0xf bank_mask:0xf
	s_mov_b32 s3, exec_lo
	s_delay_alu instid0(VALU_DEP_2) | instskip(SKIP_1) | instid1(VALU_DEP_2)
	v_mov_b32_dpp v5, v3 row_ror:4 row_mask:0xf bank_mask:0xf
	v_mov_b32_dpp v3, v2 row_ror:4 row_mask:0xf bank_mask:0xf
	v_and_b32_e32 v6, 1, v5
	s_delay_alu instid0(VALU_DEP_1)
	v_cmpx_eq_u32_e32 1, v6
	s_cbranch_execz .LBB8_25
; %bb.22:
	v_and_b32_e32 v6, 1, v9
	s_mov_b32 s4, exec_lo
	s_delay_alu instid0(VALU_DEP_1)
	v_cmpx_eq_u32_e32 1, v6
; %bb.23:
	v_cmp_lt_f32_e32 vcc_lo, v1, v4
	v_dual_mov_b32 v5, 1 :: v_dual_cndmask_b32 v4, v4, v1
	v_cmp_gt_f32_e32 vcc_lo, v2, v3
	v_cndmask_b32_e32 v3, v3, v2, vcc_lo
; %bb.24:
	s_or_b32 exec_lo, exec_lo, s4
	s_delay_alu instid0(VALU_DEP_1)
	v_dual_mov_b32 v9, v5 :: v_dual_mov_b32 v2, v3
	v_mov_b32_e32 v1, v4
.LBB8_25:
	s_or_b32 exec_lo, exec_lo, s3
	s_delay_alu instid0(VALU_DEP_2) | instskip(NEXT) | instid1(VALU_DEP_2)
	v_and_b32_e32 v3, 0xff, v9
	v_mov_b32_dpp v4, v1 row_ror:8 row_mask:0xf bank_mask:0xf
	s_mov_b32 s3, exec_lo
	s_delay_alu instid0(VALU_DEP_2) | instskip(SKIP_1) | instid1(VALU_DEP_2)
	v_mov_b32_dpp v5, v3 row_ror:8 row_mask:0xf bank_mask:0xf
	v_mov_b32_dpp v3, v2 row_ror:8 row_mask:0xf bank_mask:0xf
	v_and_b32_e32 v6, 1, v5
	s_delay_alu instid0(VALU_DEP_1)
	v_cmpx_eq_u32_e32 1, v6
	s_cbranch_execz .LBB8_29
; %bb.26:
	v_and_b32_e32 v6, 1, v9
	s_mov_b32 s4, exec_lo
	s_delay_alu instid0(VALU_DEP_1)
	v_cmpx_eq_u32_e32 1, v6
; %bb.27:
	v_cmp_lt_f32_e32 vcc_lo, v1, v4
	v_dual_mov_b32 v5, 1 :: v_dual_cndmask_b32 v4, v4, v1
	v_cmp_gt_f32_e32 vcc_lo, v2, v3
	v_cndmask_b32_e32 v3, v3, v2, vcc_lo
; %bb.28:
	s_or_b32 exec_lo, exec_lo, s4
	s_delay_alu instid0(VALU_DEP_1)
	v_dual_mov_b32 v9, v5 :: v_dual_mov_b32 v2, v3
	v_mov_b32_e32 v1, v4
.LBB8_29:
	s_or_b32 exec_lo, exec_lo, s3
	s_delay_alu instid0(VALU_DEP_2)
	v_and_b32_e32 v3, 0xff, v9
	ds_swizzle_b32 v4, v1 offset:swizzle(BROADCAST,32,15)
	s_mov_b32 s3, exec_lo
	ds_swizzle_b32 v5, v3 offset:swizzle(BROADCAST,32,15)
	ds_swizzle_b32 v3, v2 offset:swizzle(BROADCAST,32,15)
	s_waitcnt lgkmcnt(1)
	v_and_b32_e32 v6, 1, v5
	s_delay_alu instid0(VALU_DEP_1)
	v_cmpx_eq_u32_e32 1, v6
	s_cbranch_execz .LBB8_33
; %bb.30:
	v_and_b32_e32 v6, 1, v9
	s_mov_b32 s4, exec_lo
	s_delay_alu instid0(VALU_DEP_1)
	v_cmpx_eq_u32_e32 1, v6
	s_cbranch_execz .LBB8_32
; %bb.31:
	v_cmp_lt_f32_e32 vcc_lo, v1, v4
	v_dual_mov_b32 v5, 1 :: v_dual_cndmask_b32 v4, v4, v1
	s_waitcnt lgkmcnt(0)
	v_cmp_gt_f32_e32 vcc_lo, v2, v3
	v_cndmask_b32_e32 v3, v3, v2, vcc_lo
.LBB8_32:
	s_or_b32 exec_lo, exec_lo, s4
	s_waitcnt lgkmcnt(0)
	s_delay_alu instid0(VALU_DEP_1)
	v_dual_mov_b32 v9, v5 :: v_dual_mov_b32 v2, v3
	v_mov_b32_e32 v1, v4
.LBB8_33:
	s_or_b32 exec_lo, exec_lo, s3
	s_waitcnt lgkmcnt(0)
	s_delay_alu instid0(VALU_DEP_2)
	v_and_b32_e32 v3, 0xff, v9
	v_mov_b32_e32 v5, 0
	s_mov_b32 s3, exec_lo
	ds_bpermute_b32 v4, v5, v3 offset:124
	ds_bpermute_b32 v1, v5, v1 offset:124
	;; [unrolled: 1-line block ×3, first 2 shown]
	v_mbcnt_lo_u32_b32 v3, -1, 0
	s_delay_alu instid0(VALU_DEP_1)
	v_cmpx_eq_u32_e32 0, v3
	s_cbranch_execz .LBB8_35
; %bb.34:
	v_lshrrev_b32_e32 v5, 5, v0
	s_delay_alu instid0(VALU_DEP_1)
	v_mul_u32_u24_e32 v5, 12, v5
	s_waitcnt lgkmcnt(2)
	ds_store_b8 v5, v4 offset:96
	s_waitcnt lgkmcnt(1)
	ds_store_2addr_b32 v5, v1, v2 offset0:25 offset1:26
.LBB8_35:
	s_or_b32 exec_lo, exec_lo, s3
	s_delay_alu instid0(SALU_CYCLE_1)
	s_mov_b32 s3, exec_lo
	s_waitcnt lgkmcnt(0)
	s_barrier
	buffer_gl0_inv
	v_cmpx_gt_u32_e32 32, v0
	s_cbranch_execz .LBB8_49
; %bb.36:
	v_and_b32_e32 v4, 7, v3
	s_mov_b32 s4, exec_lo
	s_delay_alu instid0(VALU_DEP_1) | instskip(SKIP_4) | instid1(VALU_DEP_1)
	v_mul_u32_u24_e32 v1, 12, v4
	v_cmp_ne_u32_e32 vcc_lo, 7, v4
	ds_load_u8 v6, v1 offset:96
	ds_load_2addr_b32 v[1:2], v1 offset0:25 offset1:26
	v_add_co_ci_u32_e32 v5, vcc_lo, 0, v3, vcc_lo
	v_lshlrev_b32_e32 v7, 2, v5
	s_waitcnt lgkmcnt(1)
	v_and_b32_e32 v8, 0xff, v6
	s_waitcnt lgkmcnt(0)
	ds_bpermute_b32 v5, v7, v1
	ds_bpermute_b32 v10, v7, v8
	;; [unrolled: 1-line block ×3, first 2 shown]
	v_and_b32_e32 v8, 1, v6
	s_delay_alu instid0(VALU_DEP_1)
	v_cmpx_eq_u32_e32 1, v8
	s_cbranch_execz .LBB8_40
; %bb.37:
	s_waitcnt lgkmcnt(1)
	v_and_b32_e32 v8, 1, v10
	s_mov_b32 s5, exec_lo
	s_delay_alu instid0(VALU_DEP_1)
	v_cmpx_eq_u32_e32 1, v8
	s_cbranch_execz .LBB8_39
; %bb.38:
	s_waitcnt lgkmcnt(0)
	v_cmp_lt_f32_e32 vcc_lo, v2, v7
	v_mov_b32_e32 v6, 1
	v_cndmask_b32_e32 v2, v2, v7, vcc_lo
	v_cmp_gt_f32_e32 vcc_lo, v1, v5
	v_cndmask_b32_e32 v1, v1, v5, vcc_lo
.LBB8_39:
	s_or_b32 exec_lo, exec_lo, s5
	s_delay_alu instid0(VALU_DEP_1)
	v_dual_mov_b32 v10, v6 :: v_dual_mov_b32 v5, v1
	s_waitcnt lgkmcnt(0)
	v_mov_b32_e32 v7, v2
.LBB8_40:
	s_or_b32 exec_lo, exec_lo, s4
	v_cmp_gt_u32_e32 vcc_lo, 6, v4
	s_waitcnt lgkmcnt(1)
	v_and_b32_e32 v2, 0xff, v10
	s_mov_b32 s4, exec_lo
	v_cndmask_b32_e64 v1, 0, 1, vcc_lo
	s_delay_alu instid0(VALU_DEP_1) | instskip(NEXT) | instid1(VALU_DEP_1)
	v_lshlrev_b32_e32 v1, 1, v1
	v_add_lshl_u32 v1, v1, v3, 2
	ds_bpermute_b32 v9, v1, v2
	ds_bpermute_b32 v6, v1, v5
	s_waitcnt lgkmcnt(2)
	ds_bpermute_b32 v8, v1, v7
	v_and_b32_e32 v1, 1, v10
	s_delay_alu instid0(VALU_DEP_1)
	v_cmpx_eq_u32_e32 1, v1
	s_cbranch_execz .LBB8_44
; %bb.41:
	s_waitcnt lgkmcnt(2)
	v_and_b32_e32 v1, 1, v9
	s_mov_b32 s5, exec_lo
	s_delay_alu instid0(VALU_DEP_1)
	v_cmpx_eq_u32_e32 1, v1
	s_cbranch_execz .LBB8_43
; %bb.42:
	s_waitcnt lgkmcnt(0)
	v_cmp_lt_f32_e32 vcc_lo, v7, v8
	v_dual_mov_b32 v10, 1 :: v_dual_cndmask_b32 v7, v7, v8
	v_cmp_gt_f32_e32 vcc_lo, v5, v6
	v_cndmask_b32_e32 v5, v5, v6, vcc_lo
.LBB8_43:
	s_or_b32 exec_lo, exec_lo, s5
	s_waitcnt lgkmcnt(1)
	s_delay_alu instid0(VALU_DEP_1)
	v_dual_mov_b32 v9, v10 :: v_dual_mov_b32 v6, v5
	s_waitcnt lgkmcnt(0)
	v_mov_b32_e32 v8, v7
.LBB8_44:
	s_or_b32 exec_lo, exec_lo, s4
	v_cmp_gt_u32_e32 vcc_lo, 4, v4
	s_waitcnt lgkmcnt(2)
	v_and_b32_e32 v2, 0xff, v9
	s_mov_b32 s4, exec_lo
	v_cndmask_b32_e64 v1, 0, 1, vcc_lo
	s_delay_alu instid0(VALU_DEP_1) | instskip(NEXT) | instid1(VALU_DEP_1)
	v_lshlrev_b32_e32 v1, 2, v1
	v_add_lshl_u32 v4, v1, v3, 2
	ds_bpermute_b32 v3, v4, v2
	s_waitcnt lgkmcnt(2)
	ds_bpermute_b32 v1, v4, v6
	s_waitcnt lgkmcnt(2)
	ds_bpermute_b32 v2, v4, v8
	v_and_b32_e32 v4, 1, v9
	s_delay_alu instid0(VALU_DEP_1)
	v_cmpx_eq_u32_e32 1, v4
	s_cbranch_execz .LBB8_48
; %bb.45:
	s_waitcnt lgkmcnt(2)
	v_and_b32_e32 v3, 1, v3
	s_mov_b32 s5, exec_lo
	s_delay_alu instid0(VALU_DEP_1)
	v_cmpx_eq_u32_e32 1, v3
	s_cbranch_execz .LBB8_47
; %bb.46:
	s_waitcnt lgkmcnt(0)
	v_cmp_lt_f32_e32 vcc_lo, v8, v2
	v_dual_mov_b32 v9, 1 :: v_dual_cndmask_b32 v8, v8, v2
	v_cmp_gt_f32_e32 vcc_lo, v6, v1
	v_cndmask_b32_e32 v6, v6, v1, vcc_lo
.LBB8_47:
	s_or_b32 exec_lo, exec_lo, s5
	s_waitcnt lgkmcnt(0)
	v_dual_mov_b32 v3, v9 :: v_dual_mov_b32 v2, v8
	s_delay_alu instid0(VALU_DEP_2)
	v_mov_b32_e32 v1, v6
.LBB8_48:
	s_or_b32 exec_lo, exec_lo, s4
	s_waitcnt lgkmcnt(2)
	s_delay_alu instid0(VALU_DEP_2)
	v_and_b32_e32 v4, 0xff, v3
.LBB8_49:
	s_or_b32 exec_lo, exec_lo, s3
	s_load_b64 s[4:5], s[0:1], 0x34
	s_branch .LBB8_130
.LBB8_50:
                                        ; implicit-def: $vgpr2
                                        ; implicit-def: $vgpr4
	s_load_b64 s[4:5], s[0:1], 0x34
	s_cbranch_execz .LBB8_130
; %bb.51:
	s_waitcnt lgkmcnt(0)
	v_dual_mov_b32 v2, 0 :: v_dual_mov_b32 v1, 0
	v_dual_mov_b32 v8, 0 :: v_dual_mov_b32 v9, 0
	s_sub_i32 s17, s8, s2
	s_mov_b32 s2, exec_lo
	v_cmpx_gt_u32_e64 s17, v0
; %bb.52:
	v_mad_u64_u32 v[1:2], null, v0, 12, s[6:7]
	s_clause 0x1
	global_load_u8 v9, v[1:2], off
	global_load_b64 v[1:2], v[1:2], off offset:4
; %bb.53:
	s_or_b32 exec_lo, exec_lo, s2
	v_or_b32_e32 v3, 0x100, v0
	v_dual_mov_b32 v7, 0 :: v_dual_mov_b32 v12, 0
	s_delay_alu instid0(VALU_DEP_2) | instskip(NEXT) | instid1(VALU_DEP_1)
	v_cmp_gt_u32_e64 s3, s17, v3
	s_and_saveexec_b32 s2, s3
; %bb.54:
	v_mad_u64_u32 v[3:4], null, v0, 12, s[6:7]
	s_clause 0x1
	global_load_u8 v12, v[3:4], off offset:3072
	global_load_b64 v[7:8], v[3:4], off offset:3076
; %bb.55:
	s_or_b32 exec_lo, exec_lo, s2
	v_or_b32_e32 v3, 0x200, v0
	v_dual_mov_b32 v6, 0 :: v_dual_mov_b32 v5, 0
	v_dual_mov_b32 v10, 0 :: v_dual_mov_b32 v11, 0
	s_delay_alu instid0(VALU_DEP_3) | instskip(NEXT) | instid1(VALU_DEP_1)
	v_cmp_gt_u32_e64 s2, s17, v3
	s_and_saveexec_b32 s18, s2
; %bb.56:
	v_mad_u64_u32 v[4:5], null, v3, 12, s[6:7]
	s_clause 0x1
	global_load_u8 v11, v[4:5], off
	global_load_b64 v[5:6], v[4:5], off offset:4
; %bb.57:
	s_or_b32 exec_lo, exec_lo, s18
	v_or_b32_e32 v13, 0x300, v0
	v_dual_mov_b32 v3, 0 :: v_dual_mov_b32 v4, 0
	s_delay_alu instid0(VALU_DEP_2)
	v_cmp_gt_u32_e32 vcc_lo, s17, v13
	s_and_saveexec_b32 s18, vcc_lo
	s_cbranch_execnz .LBB8_61
; %bb.58:
	s_or_b32 exec_lo, exec_lo, s18
	s_and_saveexec_b32 s6, s3
	s_cbranch_execnz .LBB8_62
.LBB8_59:
	s_or_b32 exec_lo, exec_lo, s6
	s_and_saveexec_b32 s3, s2
	s_cbranch_execnz .LBB8_67
.LBB8_60:
	s_or_b32 exec_lo, exec_lo, s3
	s_and_saveexec_b32 s2, vcc_lo
	s_cbranch_execnz .LBB8_72
	s_branch .LBB8_77
.LBB8_61:
	v_mad_u64_u32 v[3:4], null, v13, 12, s[6:7]
	s_clause 0x1
	global_load_u8 v10, v[3:4], off
	global_load_b64 v[3:4], v[3:4], off offset:4
	s_or_b32 exec_lo, exec_lo, s18
	s_and_saveexec_b32 s6, s3
	s_cbranch_execz .LBB8_59
.LBB8_62:
	s_waitcnt vmcnt(1)
	v_and_b32_e32 v13, 1, v9
	s_mov_b32 s7, exec_lo
	s_delay_alu instid0(VALU_DEP_1)
	v_cmpx_eq_u32_e32 1, v13
	s_cbranch_execz .LBB8_66
; %bb.63:
	v_and_b32_e32 v12, 1, v12
	s_mov_b32 s18, exec_lo
	s_delay_alu instid0(VALU_DEP_1)
	v_cmpx_eq_u32_e32 1, v12
	s_cbranch_execz .LBB8_65
; %bb.64:
	s_waitcnt vmcnt(0)
	v_cmp_lt_f32_e64 s3, v7, v1
	v_mov_b32_e32 v9, 1
	s_delay_alu instid0(VALU_DEP_2) | instskip(SKIP_1) | instid1(VALU_DEP_1)
	v_cndmask_b32_e64 v1, v1, v7, s3
	v_cmp_lt_f32_e64 s3, v2, v8
	v_cndmask_b32_e64 v2, v2, v8, s3
.LBB8_65:
	s_or_b32 exec_lo, exec_lo, s18
	s_waitcnt vmcnt(0)
	s_delay_alu instid0(VALU_DEP_1)
	v_dual_mov_b32 v8, v2 :: v_dual_mov_b32 v7, v1
	v_mov_b32_e32 v12, v9
.LBB8_66:
	s_or_b32 exec_lo, exec_lo, s7
	s_delay_alu instid0(VALU_DEP_1)
	v_mov_b32_e32 v9, v12
	s_waitcnt vmcnt(0)
	v_dual_mov_b32 v1, v7 :: v_dual_mov_b32 v2, v8
	s_or_b32 exec_lo, exec_lo, s6
	s_and_saveexec_b32 s3, s2
	s_cbranch_execz .LBB8_60
.LBB8_67:
	s_waitcnt vmcnt(0)
	v_and_b32_e32 v7, 1, v9
	s_mov_b32 s6, exec_lo
	s_delay_alu instid0(VALU_DEP_1)
	v_cmpx_eq_u32_e32 1, v7
	s_cbranch_execz .LBB8_71
; %bb.68:
	v_and_b32_e32 v7, 1, v11
	s_mov_b32 s7, exec_lo
	s_delay_alu instid0(VALU_DEP_1)
	v_cmpx_eq_u32_e32 1, v7
; %bb.69:
	v_cmp_lt_f32_e64 s2, v5, v1
	v_mov_b32_e32 v9, 1
	s_delay_alu instid0(VALU_DEP_2) | instskip(SKIP_1) | instid1(VALU_DEP_1)
	v_cndmask_b32_e64 v1, v1, v5, s2
	v_cmp_lt_f32_e64 s2, v2, v6
	v_cndmask_b32_e64 v2, v2, v6, s2
; %bb.70:
	s_or_b32 exec_lo, exec_lo, s7
	s_delay_alu instid0(VALU_DEP_1)
	v_dual_mov_b32 v6, v2 :: v_dual_mov_b32 v5, v1
	v_mov_b32_e32 v11, v9
.LBB8_71:
	s_or_b32 exec_lo, exec_lo, s6
	s_delay_alu instid0(VALU_DEP_1) | instskip(NEXT) | instid1(VALU_DEP_3)
	v_dual_mov_b32 v9, v11 :: v_dual_mov_b32 v2, v6
	v_mov_b32_e32 v1, v5
	s_or_b32 exec_lo, exec_lo, s3
	s_and_saveexec_b32 s2, vcc_lo
	s_cbranch_execz .LBB8_77
.LBB8_72:
	s_waitcnt vmcnt(0)
	v_and_b32_e32 v5, 1, v9
	s_mov_b32 s3, exec_lo
	s_delay_alu instid0(VALU_DEP_1)
	v_cmpx_eq_u32_e32 1, v5
	s_cbranch_execz .LBB8_76
; %bb.73:
	v_and_b32_e32 v5, 1, v10
	s_mov_b32 s6, exec_lo
	s_delay_alu instid0(VALU_DEP_1)
	v_cmpx_eq_u32_e32 1, v5
; %bb.74:
	v_cmp_lt_f32_e32 vcc_lo, v3, v1
	v_mov_b32_e32 v9, 1
	v_cndmask_b32_e32 v1, v1, v3, vcc_lo
	v_cmp_lt_f32_e32 vcc_lo, v2, v4
	v_cndmask_b32_e32 v2, v2, v4, vcc_lo
; %bb.75:
	s_or_b32 exec_lo, exec_lo, s6
	s_delay_alu instid0(VALU_DEP_1)
	v_dual_mov_b32 v4, v2 :: v_dual_mov_b32 v3, v1
	v_mov_b32_e32 v10, v9
.LBB8_76:
	s_or_b32 exec_lo, exec_lo, s3
	s_delay_alu instid0(VALU_DEP_1) | instskip(NEXT) | instid1(VALU_DEP_3)
	v_dual_mov_b32 v9, v10 :: v_dual_mov_b32 v2, v4
	v_mov_b32_e32 v1, v3
.LBB8_77:
	s_or_b32 exec_lo, exec_lo, s2
	s_waitcnt vmcnt(0)
	v_mbcnt_lo_u32_b32 v3, -1, 0
	v_and_b32_e32 v6, 0xff, v9
	s_min_u32 s2, s17, 0x100
	s_delay_alu instid0(VALU_DEP_2) | instskip(SKIP_1) | instid1(VALU_DEP_1)
	v_cmp_ne_u32_e32 vcc_lo, 31, v3
	v_add_co_ci_u32_e32 v4, vcc_lo, 0, v3, vcc_lo
	v_lshlrev_b32_e32 v4, 2, v4
	ds_bpermute_b32 v10, v4, v6
	ds_bpermute_b32 v7, v4, v1
	;; [unrolled: 1-line block ×3, first 2 shown]
	v_and_b32_e32 v4, 0xe0, v0
	s_delay_alu instid0(VALU_DEP_1) | instskip(SKIP_1) | instid1(VALU_DEP_1)
	v_sub_nc_u32_e64 v5, s2, v4 clamp
	v_add_nc_u32_e32 v4, 1, v3
	v_cmp_lt_u32_e32 vcc_lo, v4, v5
	v_mov_b32_e32 v4, v6
	s_and_saveexec_b32 s3, vcc_lo
	s_delay_alu instid0(SALU_CYCLE_1)
	s_xor_b32 s3, exec_lo, s3
	s_cbranch_execz .LBB8_83
; %bb.78:
	v_and_b32_e32 v4, 1, v9
	s_mov_b32 s6, exec_lo
	s_delay_alu instid0(VALU_DEP_1)
	v_cmpx_eq_u32_e32 1, v4
	s_cbranch_execz .LBB8_82
; %bb.79:
	s_waitcnt lgkmcnt(2)
	v_and_b32_e32 v4, 1, v10
	s_mov_b32 s7, exec_lo
	s_delay_alu instid0(VALU_DEP_1)
	v_cmpx_eq_u32_e32 1, v4
	s_cbranch_execz .LBB8_81
; %bb.80:
	s_waitcnt lgkmcnt(0)
	v_cmp_lt_f32_e32 vcc_lo, v2, v8
	v_mov_b32_e32 v6, 1
	v_cndmask_b32_e32 v2, v2, v8, vcc_lo
	v_cmp_gt_f32_e32 vcc_lo, v1, v7
	v_cndmask_b32_e32 v1, v1, v7, vcc_lo
.LBB8_81:
	s_or_b32 exec_lo, exec_lo, s7
	s_waitcnt lgkmcnt(1)
	s_delay_alu instid0(VALU_DEP_1)
	v_dual_mov_b32 v10, v6 :: v_dual_mov_b32 v7, v1
	s_waitcnt lgkmcnt(0)
	v_mov_b32_e32 v8, v2
.LBB8_82:
	s_or_b32 exec_lo, exec_lo, s6
	s_waitcnt lgkmcnt(1)
	v_dual_mov_b32 v1, v7 :: v_dual_and_b32 v4, 0xff, v10
	s_waitcnt lgkmcnt(0)
	v_mov_b32_e32 v2, v8
	v_mov_b32_e32 v6, v10
.LBB8_83:
	s_or_b32 exec_lo, exec_lo, s3
	v_cmp_gt_u32_e32 vcc_lo, 30, v3
	s_waitcnt lgkmcnt(2)
	v_add_nc_u32_e32 v10, 2, v3
	s_mov_b32 s3, exec_lo
	s_waitcnt lgkmcnt(1)
	v_cndmask_b32_e64 v7, 0, 1, vcc_lo
	s_delay_alu instid0(VALU_DEP_1) | instskip(SKIP_1) | instid1(VALU_DEP_1)
	v_lshlrev_b32_e32 v7, 1, v7
	s_waitcnt lgkmcnt(0)
	v_add_lshl_u32 v8, v7, v3, 2
	ds_bpermute_b32 v9, v8, v4
	ds_bpermute_b32 v7, v8, v1
	ds_bpermute_b32 v8, v8, v2
	v_cmpx_lt_u32_e64 v10, v5
	s_cbranch_execz .LBB8_89
; %bb.84:
	v_and_b32_e32 v4, 1, v6
	s_mov_b32 s6, exec_lo
	s_delay_alu instid0(VALU_DEP_1)
	v_cmpx_eq_u32_e32 1, v4
	s_cbranch_execz .LBB8_88
; %bb.85:
	s_waitcnt lgkmcnt(2)
	v_and_b32_e32 v4, 1, v9
	s_mov_b32 s7, exec_lo
	s_delay_alu instid0(VALU_DEP_1)
	v_cmpx_eq_u32_e32 1, v4
	s_cbranch_execz .LBB8_87
; %bb.86:
	s_waitcnt lgkmcnt(0)
	v_cmp_lt_f32_e32 vcc_lo, v2, v8
	v_mov_b32_e32 v6, 1
	v_cndmask_b32_e32 v2, v2, v8, vcc_lo
	v_cmp_gt_f32_e32 vcc_lo, v1, v7
	v_cndmask_b32_e32 v1, v1, v7, vcc_lo
.LBB8_87:
	s_or_b32 exec_lo, exec_lo, s7
	v_mov_b32_e32 v9, v6
	s_waitcnt lgkmcnt(0)
	s_delay_alu instid0(VALU_DEP_2)
	v_dual_mov_b32 v7, v1 :: v_dual_mov_b32 v8, v2
.LBB8_88:
	s_or_b32 exec_lo, exec_lo, s6
	s_waitcnt lgkmcnt(1)
	s_delay_alu instid0(VALU_DEP_1)
	v_dual_mov_b32 v1, v7 :: v_dual_and_b32 v4, 0xff, v9
	s_waitcnt lgkmcnt(0)
	v_mov_b32_e32 v2, v8
	v_mov_b32_e32 v6, v9
.LBB8_89:
	s_or_b32 exec_lo, exec_lo, s3
	v_cmp_gt_u32_e32 vcc_lo, 28, v3
	v_add_nc_u32_e32 v10, 4, v3
	s_mov_b32 s3, exec_lo
	s_waitcnt lgkmcnt(1)
	v_cndmask_b32_e64 v7, 0, 1, vcc_lo
	s_delay_alu instid0(VALU_DEP_1) | instskip(SKIP_1) | instid1(VALU_DEP_1)
	v_lshlrev_b32_e32 v7, 2, v7
	s_waitcnt lgkmcnt(0)
	v_add_lshl_u32 v8, v7, v3, 2
	ds_bpermute_b32 v9, v8, v4
	ds_bpermute_b32 v7, v8, v1
	ds_bpermute_b32 v8, v8, v2
	v_cmpx_lt_u32_e64 v10, v5
	s_cbranch_execz .LBB8_95
; %bb.90:
	v_and_b32_e32 v4, 1, v6
	s_mov_b32 s6, exec_lo
	s_delay_alu instid0(VALU_DEP_1)
	v_cmpx_eq_u32_e32 1, v4
	s_cbranch_execz .LBB8_94
; %bb.91:
	s_waitcnt lgkmcnt(2)
	v_and_b32_e32 v4, 1, v9
	s_mov_b32 s7, exec_lo
	s_delay_alu instid0(VALU_DEP_1)
	v_cmpx_eq_u32_e32 1, v4
	s_cbranch_execz .LBB8_93
; %bb.92:
	s_waitcnt lgkmcnt(0)
	v_cmp_lt_f32_e32 vcc_lo, v2, v8
	v_mov_b32_e32 v6, 1
	v_cndmask_b32_e32 v2, v2, v8, vcc_lo
	v_cmp_gt_f32_e32 vcc_lo, v1, v7
	v_cndmask_b32_e32 v1, v1, v7, vcc_lo
.LBB8_93:
	s_or_b32 exec_lo, exec_lo, s7
	v_mov_b32_e32 v9, v6
	s_waitcnt lgkmcnt(0)
	s_delay_alu instid0(VALU_DEP_2)
	v_dual_mov_b32 v7, v1 :: v_dual_mov_b32 v8, v2
.LBB8_94:
	s_or_b32 exec_lo, exec_lo, s6
	s_waitcnt lgkmcnt(1)
	s_delay_alu instid0(VALU_DEP_1)
	v_dual_mov_b32 v1, v7 :: v_dual_and_b32 v4, 0xff, v9
	s_waitcnt lgkmcnt(0)
	v_mov_b32_e32 v2, v8
	v_mov_b32_e32 v6, v9
.LBB8_95:
	s_or_b32 exec_lo, exec_lo, s3
	v_cmp_gt_u32_e32 vcc_lo, 24, v3
	;; [unrolled: 50-line block ×3, first 2 shown]
	v_add_nc_u32_e32 v10, 16, v3
	s_mov_b32 s3, exec_lo
	s_waitcnt lgkmcnt(1)
	v_cndmask_b32_e64 v7, 0, 1, vcc_lo
	s_delay_alu instid0(VALU_DEP_1) | instskip(SKIP_1) | instid1(VALU_DEP_1)
	v_lshlrev_b32_e32 v7, 4, v7
	s_waitcnt lgkmcnt(0)
	v_add_lshl_u32 v8, v7, v3, 2
	ds_bpermute_b32 v9, v8, v4
	ds_bpermute_b32 v7, v8, v1
	;; [unrolled: 1-line block ×3, first 2 shown]
	v_cmpx_lt_u32_e64 v10, v5
	s_cbranch_execz .LBB8_107
; %bb.102:
	v_and_b32_e32 v4, 1, v6
	s_mov_b32 s6, exec_lo
	s_delay_alu instid0(VALU_DEP_1)
	v_cmpx_eq_u32_e32 1, v4
	s_cbranch_execz .LBB8_106
; %bb.103:
	s_waitcnt lgkmcnt(2)
	v_and_b32_e32 v4, 1, v9
	s_mov_b32 s7, exec_lo
	s_delay_alu instid0(VALU_DEP_1)
	v_cmpx_eq_u32_e32 1, v4
	s_cbranch_execz .LBB8_105
; %bb.104:
	s_waitcnt lgkmcnt(0)
	v_cmp_lt_f32_e32 vcc_lo, v2, v8
	v_mov_b32_e32 v6, 1
	v_cndmask_b32_e32 v2, v2, v8, vcc_lo
	v_cmp_gt_f32_e32 vcc_lo, v1, v7
	v_cndmask_b32_e32 v1, v1, v7, vcc_lo
.LBB8_105:
	s_or_b32 exec_lo, exec_lo, s7
	v_mov_b32_e32 v9, v6
	s_waitcnt lgkmcnt(0)
	s_delay_alu instid0(VALU_DEP_2)
	v_dual_mov_b32 v7, v1 :: v_dual_mov_b32 v8, v2
.LBB8_106:
	s_or_b32 exec_lo, exec_lo, s6
	s_waitcnt lgkmcnt(1)
	s_delay_alu instid0(VALU_DEP_1)
	v_dual_mov_b32 v1, v7 :: v_dual_and_b32 v4, 0xff, v9
	v_mov_b32_e32 v6, v9
	s_waitcnt lgkmcnt(0)
	v_mov_b32_e32 v2, v8
.LBB8_107:
	s_or_b32 exec_lo, exec_lo, s3
	s_delay_alu instid0(SALU_CYCLE_1)
	s_mov_b32 s3, exec_lo
	v_cmpx_eq_u32_e32 0, v3
	s_cbranch_execz .LBB8_109
; %bb.108:
	v_lshrrev_b32_e32 v5, 5, v0
	s_delay_alu instid0(VALU_DEP_1)
	v_mul_u32_u24_e32 v5, 12, v5
	ds_store_b8 v5, v6
	ds_store_2addr_b32 v5, v1, v2 offset0:1 offset1:2
.LBB8_109:
	s_or_b32 exec_lo, exec_lo, s3
	s_delay_alu instid0(SALU_CYCLE_1)
	s_mov_b32 s3, exec_lo
	s_waitcnt lgkmcnt(0)
	s_barrier
	buffer_gl0_inv
	v_cmpx_gt_u32_e32 8, v0
	s_cbranch_execz .LBB8_129
; %bb.110:
	v_mul_u32_u24_e32 v1, 12, v3
	s_add_i32 s2, s2, 31
	ds_load_u8 v5, v1
	ds_load_2addr_b32 v[1:2], v1 offset0:1 offset1:2
	v_and_b32_e32 v6, 7, v3
	s_lshr_b32 s2, s2, 5
	s_delay_alu instid0(VALU_DEP_1) | instskip(SKIP_1) | instid1(VALU_DEP_1)
	v_cmp_ne_u32_e32 vcc_lo, 7, v6
	v_add_co_ci_u32_e32 v4, vcc_lo, 0, v3, vcc_lo
	v_lshlrev_b32_e32 v7, 2, v4
	s_waitcnt lgkmcnt(1)
	v_and_b32_e32 v4, 0xff, v5
	s_waitcnt lgkmcnt(0)
	v_mov_b32_e32 v8, v2
	ds_bpermute_b32 v9, v7, v1
	ds_bpermute_b32 v10, v7, v2
	;; [unrolled: 1-line block ×3, first 2 shown]
	v_add_nc_u32_e32 v7, 1, v6
	s_delay_alu instid0(VALU_DEP_1)
	v_cmp_gt_u32_e32 vcc_lo, s2, v7
	v_mov_b32_e32 v7, v1
	s_and_saveexec_b32 s6, vcc_lo
	s_cbranch_execz .LBB8_116
; %bb.111:
	v_and_b32_e32 v4, 1, v5
	s_mov_b32 s7, exec_lo
	s_delay_alu instid0(VALU_DEP_1)
	v_cmpx_eq_u32_e32 1, v4
	s_cbranch_execz .LBB8_115
; %bb.112:
	s_waitcnt lgkmcnt(0)
	v_and_b32_e32 v4, 1, v11
	s_mov_b32 s17, exec_lo
	s_delay_alu instid0(VALU_DEP_1)
	v_cmpx_eq_u32_e32 1, v4
; %bb.113:
	v_cmp_lt_f32_e32 vcc_lo, v2, v10
	v_dual_mov_b32 v5, 1 :: v_dual_cndmask_b32 v2, v2, v10
	v_cmp_gt_f32_e32 vcc_lo, v1, v9
	v_cndmask_b32_e32 v1, v1, v9, vcc_lo
; %bb.114:
	s_or_b32 exec_lo, exec_lo, s17
	s_delay_alu instid0(VALU_DEP_3) | instskip(NEXT) | instid1(VALU_DEP_2)
	v_dual_mov_b32 v11, v5 :: v_dual_mov_b32 v10, v2
	v_mov_b32_e32 v9, v1
.LBB8_115:
	s_or_b32 exec_lo, exec_lo, s7
	s_waitcnt lgkmcnt(0)
	s_delay_alu instid0(VALU_DEP_1)
	v_dual_mov_b32 v7, v9 :: v_dual_and_b32 v4, 0xff, v11
	v_dual_mov_b32 v8, v10 :: v_dual_mov_b32 v5, v11
	v_dual_mov_b32 v2, v10 :: v_dual_mov_b32 v1, v9
.LBB8_116:
	s_or_b32 exec_lo, exec_lo, s6
	v_cmp_gt_u32_e32 vcc_lo, 6, v6
	v_add_nc_u32_e32 v12, 2, v6
	s_mov_b32 s6, exec_lo
	s_waitcnt lgkmcnt(2)
	v_cndmask_b32_e64 v9, 0, 1, vcc_lo
	s_delay_alu instid0(VALU_DEP_1) | instskip(SKIP_1) | instid1(VALU_DEP_1)
	v_lshlrev_b32_e32 v9, 1, v9
	s_waitcnt lgkmcnt(1)
	v_add_lshl_u32 v10, v9, v3, 2
	s_waitcnt lgkmcnt(0)
	ds_bpermute_b32 v11, v10, v4
	ds_bpermute_b32 v9, v10, v7
	;; [unrolled: 1-line block ×3, first 2 shown]
	v_cmpx_gt_u32_e64 s2, v12
	s_cbranch_execz .LBB8_122
; %bb.117:
	v_and_b32_e32 v4, 1, v5
	s_mov_b32 s7, exec_lo
	s_delay_alu instid0(VALU_DEP_1)
	v_cmpx_eq_u32_e32 1, v4
	s_cbranch_execz .LBB8_121
; %bb.118:
	s_waitcnt lgkmcnt(2)
	v_and_b32_e32 v4, 1, v11
	s_mov_b32 s17, exec_lo
	s_delay_alu instid0(VALU_DEP_1)
	v_cmpx_eq_u32_e32 1, v4
	s_cbranch_execz .LBB8_120
; %bb.119:
	s_waitcnt lgkmcnt(0)
	v_cmp_lt_f32_e32 vcc_lo, v2, v10
	v_dual_mov_b32 v5, 1 :: v_dual_cndmask_b32 v2, v2, v10
	v_cmp_gt_f32_e32 vcc_lo, v1, v9
	v_cndmask_b32_e32 v1, v1, v9, vcc_lo
.LBB8_120:
	s_or_b32 exec_lo, exec_lo, s17
	s_waitcnt lgkmcnt(0)
	v_dual_mov_b32 v11, v5 :: v_dual_mov_b32 v10, v2
	s_delay_alu instid0(VALU_DEP_2)
	v_mov_b32_e32 v9, v1
.LBB8_121:
	s_or_b32 exec_lo, exec_lo, s7
	s_waitcnt lgkmcnt(1)
	s_delay_alu instid0(VALU_DEP_1)
	v_dual_mov_b32 v7, v9 :: v_dual_and_b32 v4, 0xff, v11
	s_waitcnt lgkmcnt(0)
	v_dual_mov_b32 v8, v10 :: v_dual_mov_b32 v5, v11
	v_dual_mov_b32 v2, v10 :: v_dual_mov_b32 v1, v9
.LBB8_122:
	s_or_b32 exec_lo, exec_lo, s6
	v_cmp_gt_u32_e32 vcc_lo, 4, v6
	v_add_nc_u32_e32 v6, 4, v6
	s_waitcnt lgkmcnt(1)
	v_cndmask_b32_e64 v9, 0, 1, vcc_lo
	s_delay_alu instid0(VALU_DEP_2) | instskip(NEXT) | instid1(VALU_DEP_2)
	v_cmp_gt_u32_e32 vcc_lo, s2, v6
	v_lshlrev_b32_e32 v9, 2, v9
	s_waitcnt lgkmcnt(0)
	s_delay_alu instid0(VALU_DEP_1)
	v_add_lshl_u32 v10, v9, v3, 2
	ds_bpermute_b32 v9, v10, v4
	ds_bpermute_b32 v3, v10, v7
	;; [unrolled: 1-line block ×3, first 2 shown]
	s_and_saveexec_b32 s2, vcc_lo
	s_cbranch_execz .LBB8_128
; %bb.123:
	v_and_b32_e32 v4, 1, v5
	s_mov_b32 s6, exec_lo
	s_delay_alu instid0(VALU_DEP_1)
	v_cmpx_eq_u32_e32 1, v4
	s_cbranch_execz .LBB8_127
; %bb.124:
	s_waitcnt lgkmcnt(2)
	v_and_b32_e32 v4, 1, v9
	s_mov_b32 s7, exec_lo
	s_delay_alu instid0(VALU_DEP_1)
	v_cmpx_eq_u32_e32 1, v4
	s_cbranch_execz .LBB8_126
; %bb.125:
	s_waitcnt lgkmcnt(0)
	v_cmp_lt_f32_e32 vcc_lo, v2, v7
	v_dual_mov_b32 v5, 1 :: v_dual_cndmask_b32 v2, v2, v7
	v_cmp_gt_f32_e32 vcc_lo, v1, v3
	v_cndmask_b32_e32 v1, v1, v3, vcc_lo
.LBB8_126:
	s_or_b32 exec_lo, exec_lo, s7
	s_delay_alu instid0(VALU_DEP_3) | instskip(SKIP_1) | instid1(VALU_DEP_2)
	v_mov_b32_e32 v9, v5
	s_waitcnt lgkmcnt(1)
	v_mov_b32_e32 v3, v1
	s_waitcnt lgkmcnt(0)
	v_mov_b32_e32 v7, v2
.LBB8_127:
	s_or_b32 exec_lo, exec_lo, s6
	s_waitcnt lgkmcnt(1)
	v_dual_mov_b32 v1, v3 :: v_dual_and_b32 v4, 0xff, v9
	s_waitcnt lgkmcnt(0)
	v_mov_b32_e32 v2, v7
.LBB8_128:
	s_or_b32 exec_lo, exec_lo, s2
.LBB8_129:
	s_delay_alu instid0(SALU_CYCLE_1)
	s_or_b32 exec_lo, exec_lo, s3
.LBB8_130:
	s_load_b32 s0, s[0:1], 0x30
	s_mov_b32 s1, exec_lo
	v_cmpx_eq_u32_e32 0, v0
	s_cbranch_execz .LBB8_132
; %bb.131:
	s_mul_i32 s1, s14, s13
	s_mul_hi_u32 s2, s14, s12
	s_mul_i32 s3, s15, s12
	s_add_i32 s1, s2, s1
	s_mul_i32 s2, s14, s12
	s_add_i32 s1, s1, s3
	s_mul_hi_u32 s3, s2, 12
	s_mul_i32 s1, s1, 12
	s_mul_i32 s2, s2, 12
	s_add_i32 s3, s3, s1
	s_add_u32 s1, s10, s2
	s_addc_u32 s2, s11, s3
	s_cmp_eq_u64 s[8:9], 0
	s_waitcnt lgkmcnt(0)
	v_mov_b32_e32 v3, 0
	s_cselect_b32 s3, -1, 0
	s_delay_alu instid0(SALU_CYCLE_1)
	v_cndmask_b32_e64 v0, v4, s0, s3
	s_mul_i32 s0, s16, 12
	v_cndmask_b32_e64 v2, v2, s5, s3
	v_cndmask_b32_e64 v1, v1, s4, s3
	s_mul_hi_u32 s3, s16, 12
	s_add_u32 s0, s1, s0
	s_addc_u32 s1, s2, s3
	s_clause 0x1
	global_store_b8 v3, v0, s[0:1]
	global_store_b64 v3, v[1:2], s[0:1] offset:4
.LBB8_132:
	s_nop 0
	s_sendmsg sendmsg(MSG_DEALLOC_VGPRS)
	s_endpgm
	.section	.rodata,"a",@progbits
	.p2align	6, 0x0
	.amdhsa_kernel _ZN7rocprim17ROCPRIM_400000_NS6detail17trampoline_kernelINS0_14default_configENS1_22reduce_config_selectorIN6thrust23THRUST_200600_302600_NS5tupleIbffNS6_9null_typeES8_S8_S8_S8_S8_S8_EEEEZNS1_11reduce_implILb1ES3_PS9_SC_S9_12reduce_tupleIifEEE10hipError_tPvRmT1_T2_T3_mT4_P12ihipStream_tbEUlT_E0_NS1_11comp_targetILNS1_3genE9ELNS1_11target_archE1100ELNS1_3gpuE3ELNS1_3repE0EEENS1_30default_config_static_selectorELNS0_4arch9wavefront6targetE0EEEvSI_
		.amdhsa_group_segment_fixed_size 192
		.amdhsa_private_segment_fixed_size 0
		.amdhsa_kernarg_size 64
		.amdhsa_user_sgpr_count 15
		.amdhsa_user_sgpr_dispatch_ptr 0
		.amdhsa_user_sgpr_queue_ptr 0
		.amdhsa_user_sgpr_kernarg_segment_ptr 1
		.amdhsa_user_sgpr_dispatch_id 0
		.amdhsa_user_sgpr_private_segment_size 0
		.amdhsa_wavefront_size32 1
		.amdhsa_uses_dynamic_stack 0
		.amdhsa_enable_private_segment 0
		.amdhsa_system_sgpr_workgroup_id_x 1
		.amdhsa_system_sgpr_workgroup_id_y 0
		.amdhsa_system_sgpr_workgroup_id_z 0
		.amdhsa_system_sgpr_workgroup_info 0
		.amdhsa_system_vgpr_workitem_id 0
		.amdhsa_next_free_vgpr 15
		.amdhsa_next_free_sgpr 19
		.amdhsa_reserve_vcc 1
		.amdhsa_float_round_mode_32 0
		.amdhsa_float_round_mode_16_64 0
		.amdhsa_float_denorm_mode_32 3
		.amdhsa_float_denorm_mode_16_64 3
		.amdhsa_dx10_clamp 1
		.amdhsa_ieee_mode 1
		.amdhsa_fp16_overflow 0
		.amdhsa_workgroup_processor_mode 1
		.amdhsa_memory_ordered 1
		.amdhsa_forward_progress 0
		.amdhsa_shared_vgpr_count 0
		.amdhsa_exception_fp_ieee_invalid_op 0
		.amdhsa_exception_fp_denorm_src 0
		.amdhsa_exception_fp_ieee_div_zero 0
		.amdhsa_exception_fp_ieee_overflow 0
		.amdhsa_exception_fp_ieee_underflow 0
		.amdhsa_exception_fp_ieee_inexact 0
		.amdhsa_exception_int_div_zero 0
	.end_amdhsa_kernel
	.section	.text._ZN7rocprim17ROCPRIM_400000_NS6detail17trampoline_kernelINS0_14default_configENS1_22reduce_config_selectorIN6thrust23THRUST_200600_302600_NS5tupleIbffNS6_9null_typeES8_S8_S8_S8_S8_S8_EEEEZNS1_11reduce_implILb1ES3_PS9_SC_S9_12reduce_tupleIifEEE10hipError_tPvRmT1_T2_T3_mT4_P12ihipStream_tbEUlT_E0_NS1_11comp_targetILNS1_3genE9ELNS1_11target_archE1100ELNS1_3gpuE3ELNS1_3repE0EEENS1_30default_config_static_selectorELNS0_4arch9wavefront6targetE0EEEvSI_,"axG",@progbits,_ZN7rocprim17ROCPRIM_400000_NS6detail17trampoline_kernelINS0_14default_configENS1_22reduce_config_selectorIN6thrust23THRUST_200600_302600_NS5tupleIbffNS6_9null_typeES8_S8_S8_S8_S8_S8_EEEEZNS1_11reduce_implILb1ES3_PS9_SC_S9_12reduce_tupleIifEEE10hipError_tPvRmT1_T2_T3_mT4_P12ihipStream_tbEUlT_E0_NS1_11comp_targetILNS1_3genE9ELNS1_11target_archE1100ELNS1_3gpuE3ELNS1_3repE0EEENS1_30default_config_static_selectorELNS0_4arch9wavefront6targetE0EEEvSI_,comdat
.Lfunc_end8:
	.size	_ZN7rocprim17ROCPRIM_400000_NS6detail17trampoline_kernelINS0_14default_configENS1_22reduce_config_selectorIN6thrust23THRUST_200600_302600_NS5tupleIbffNS6_9null_typeES8_S8_S8_S8_S8_S8_EEEEZNS1_11reduce_implILb1ES3_PS9_SC_S9_12reduce_tupleIifEEE10hipError_tPvRmT1_T2_T3_mT4_P12ihipStream_tbEUlT_E0_NS1_11comp_targetILNS1_3genE9ELNS1_11target_archE1100ELNS1_3gpuE3ELNS1_3repE0EEENS1_30default_config_static_selectorELNS0_4arch9wavefront6targetE0EEEvSI_, .Lfunc_end8-_ZN7rocprim17ROCPRIM_400000_NS6detail17trampoline_kernelINS0_14default_configENS1_22reduce_config_selectorIN6thrust23THRUST_200600_302600_NS5tupleIbffNS6_9null_typeES8_S8_S8_S8_S8_S8_EEEEZNS1_11reduce_implILb1ES3_PS9_SC_S9_12reduce_tupleIifEEE10hipError_tPvRmT1_T2_T3_mT4_P12ihipStream_tbEUlT_E0_NS1_11comp_targetILNS1_3genE9ELNS1_11target_archE1100ELNS1_3gpuE3ELNS1_3repE0EEENS1_30default_config_static_selectorELNS0_4arch9wavefront6targetE0EEEvSI_
                                        ; -- End function
	.section	.AMDGPU.csdata,"",@progbits
; Kernel info:
; codeLenInByte = 4540
; NumSgprs: 21
; NumVgprs: 15
; ScratchSize: 0
; MemoryBound: 0
; FloatMode: 240
; IeeeMode: 1
; LDSByteSize: 192 bytes/workgroup (compile time only)
; SGPRBlocks: 2
; VGPRBlocks: 1
; NumSGPRsForWavesPerEU: 21
; NumVGPRsForWavesPerEU: 15
; Occupancy: 16
; WaveLimiterHint : 1
; COMPUTE_PGM_RSRC2:SCRATCH_EN: 0
; COMPUTE_PGM_RSRC2:USER_SGPR: 15
; COMPUTE_PGM_RSRC2:TRAP_HANDLER: 0
; COMPUTE_PGM_RSRC2:TGID_X_EN: 1
; COMPUTE_PGM_RSRC2:TGID_Y_EN: 0
; COMPUTE_PGM_RSRC2:TGID_Z_EN: 0
; COMPUTE_PGM_RSRC2:TIDIG_COMP_CNT: 0
	.section	.text._ZN7rocprim17ROCPRIM_400000_NS6detail17trampoline_kernelINS0_14default_configENS1_22reduce_config_selectorIN6thrust23THRUST_200600_302600_NS5tupleIbffNS6_9null_typeES8_S8_S8_S8_S8_S8_EEEEZNS1_11reduce_implILb1ES3_PS9_SC_S9_12reduce_tupleIifEEE10hipError_tPvRmT1_T2_T3_mT4_P12ihipStream_tbEUlT_E0_NS1_11comp_targetILNS1_3genE8ELNS1_11target_archE1030ELNS1_3gpuE2ELNS1_3repE0EEENS1_30default_config_static_selectorELNS0_4arch9wavefront6targetE0EEEvSI_,"axG",@progbits,_ZN7rocprim17ROCPRIM_400000_NS6detail17trampoline_kernelINS0_14default_configENS1_22reduce_config_selectorIN6thrust23THRUST_200600_302600_NS5tupleIbffNS6_9null_typeES8_S8_S8_S8_S8_S8_EEEEZNS1_11reduce_implILb1ES3_PS9_SC_S9_12reduce_tupleIifEEE10hipError_tPvRmT1_T2_T3_mT4_P12ihipStream_tbEUlT_E0_NS1_11comp_targetILNS1_3genE8ELNS1_11target_archE1030ELNS1_3gpuE2ELNS1_3repE0EEENS1_30default_config_static_selectorELNS0_4arch9wavefront6targetE0EEEvSI_,comdat
	.protected	_ZN7rocprim17ROCPRIM_400000_NS6detail17trampoline_kernelINS0_14default_configENS1_22reduce_config_selectorIN6thrust23THRUST_200600_302600_NS5tupleIbffNS6_9null_typeES8_S8_S8_S8_S8_S8_EEEEZNS1_11reduce_implILb1ES3_PS9_SC_S9_12reduce_tupleIifEEE10hipError_tPvRmT1_T2_T3_mT4_P12ihipStream_tbEUlT_E0_NS1_11comp_targetILNS1_3genE8ELNS1_11target_archE1030ELNS1_3gpuE2ELNS1_3repE0EEENS1_30default_config_static_selectorELNS0_4arch9wavefront6targetE0EEEvSI_ ; -- Begin function _ZN7rocprim17ROCPRIM_400000_NS6detail17trampoline_kernelINS0_14default_configENS1_22reduce_config_selectorIN6thrust23THRUST_200600_302600_NS5tupleIbffNS6_9null_typeES8_S8_S8_S8_S8_S8_EEEEZNS1_11reduce_implILb1ES3_PS9_SC_S9_12reduce_tupleIifEEE10hipError_tPvRmT1_T2_T3_mT4_P12ihipStream_tbEUlT_E0_NS1_11comp_targetILNS1_3genE8ELNS1_11target_archE1030ELNS1_3gpuE2ELNS1_3repE0EEENS1_30default_config_static_selectorELNS0_4arch9wavefront6targetE0EEEvSI_
	.globl	_ZN7rocprim17ROCPRIM_400000_NS6detail17trampoline_kernelINS0_14default_configENS1_22reduce_config_selectorIN6thrust23THRUST_200600_302600_NS5tupleIbffNS6_9null_typeES8_S8_S8_S8_S8_S8_EEEEZNS1_11reduce_implILb1ES3_PS9_SC_S9_12reduce_tupleIifEEE10hipError_tPvRmT1_T2_T3_mT4_P12ihipStream_tbEUlT_E0_NS1_11comp_targetILNS1_3genE8ELNS1_11target_archE1030ELNS1_3gpuE2ELNS1_3repE0EEENS1_30default_config_static_selectorELNS0_4arch9wavefront6targetE0EEEvSI_
	.p2align	8
	.type	_ZN7rocprim17ROCPRIM_400000_NS6detail17trampoline_kernelINS0_14default_configENS1_22reduce_config_selectorIN6thrust23THRUST_200600_302600_NS5tupleIbffNS6_9null_typeES8_S8_S8_S8_S8_S8_EEEEZNS1_11reduce_implILb1ES3_PS9_SC_S9_12reduce_tupleIifEEE10hipError_tPvRmT1_T2_T3_mT4_P12ihipStream_tbEUlT_E0_NS1_11comp_targetILNS1_3genE8ELNS1_11target_archE1030ELNS1_3gpuE2ELNS1_3repE0EEENS1_30default_config_static_selectorELNS0_4arch9wavefront6targetE0EEEvSI_,@function
_ZN7rocprim17ROCPRIM_400000_NS6detail17trampoline_kernelINS0_14default_configENS1_22reduce_config_selectorIN6thrust23THRUST_200600_302600_NS5tupleIbffNS6_9null_typeES8_S8_S8_S8_S8_S8_EEEEZNS1_11reduce_implILb1ES3_PS9_SC_S9_12reduce_tupleIifEEE10hipError_tPvRmT1_T2_T3_mT4_P12ihipStream_tbEUlT_E0_NS1_11comp_targetILNS1_3genE8ELNS1_11target_archE1030ELNS1_3gpuE2ELNS1_3repE0EEENS1_30default_config_static_selectorELNS0_4arch9wavefront6targetE0EEEvSI_: ; @_ZN7rocprim17ROCPRIM_400000_NS6detail17trampoline_kernelINS0_14default_configENS1_22reduce_config_selectorIN6thrust23THRUST_200600_302600_NS5tupleIbffNS6_9null_typeES8_S8_S8_S8_S8_S8_EEEEZNS1_11reduce_implILb1ES3_PS9_SC_S9_12reduce_tupleIifEEE10hipError_tPvRmT1_T2_T3_mT4_P12ihipStream_tbEUlT_E0_NS1_11comp_targetILNS1_3genE8ELNS1_11target_archE1030ELNS1_3gpuE2ELNS1_3repE0EEENS1_30default_config_static_selectorELNS0_4arch9wavefront6targetE0EEEvSI_
; %bb.0:
	.section	.rodata,"a",@progbits
	.p2align	6, 0x0
	.amdhsa_kernel _ZN7rocprim17ROCPRIM_400000_NS6detail17trampoline_kernelINS0_14default_configENS1_22reduce_config_selectorIN6thrust23THRUST_200600_302600_NS5tupleIbffNS6_9null_typeES8_S8_S8_S8_S8_S8_EEEEZNS1_11reduce_implILb1ES3_PS9_SC_S9_12reduce_tupleIifEEE10hipError_tPvRmT1_T2_T3_mT4_P12ihipStream_tbEUlT_E0_NS1_11comp_targetILNS1_3genE8ELNS1_11target_archE1030ELNS1_3gpuE2ELNS1_3repE0EEENS1_30default_config_static_selectorELNS0_4arch9wavefront6targetE0EEEvSI_
		.amdhsa_group_segment_fixed_size 0
		.amdhsa_private_segment_fixed_size 0
		.amdhsa_kernarg_size 64
		.amdhsa_user_sgpr_count 15
		.amdhsa_user_sgpr_dispatch_ptr 0
		.amdhsa_user_sgpr_queue_ptr 0
		.amdhsa_user_sgpr_kernarg_segment_ptr 1
		.amdhsa_user_sgpr_dispatch_id 0
		.amdhsa_user_sgpr_private_segment_size 0
		.amdhsa_wavefront_size32 1
		.amdhsa_uses_dynamic_stack 0
		.amdhsa_enable_private_segment 0
		.amdhsa_system_sgpr_workgroup_id_x 1
		.amdhsa_system_sgpr_workgroup_id_y 0
		.amdhsa_system_sgpr_workgroup_id_z 0
		.amdhsa_system_sgpr_workgroup_info 0
		.amdhsa_system_vgpr_workitem_id 0
		.amdhsa_next_free_vgpr 1
		.amdhsa_next_free_sgpr 1
		.amdhsa_reserve_vcc 0
		.amdhsa_float_round_mode_32 0
		.amdhsa_float_round_mode_16_64 0
		.amdhsa_float_denorm_mode_32 3
		.amdhsa_float_denorm_mode_16_64 3
		.amdhsa_dx10_clamp 1
		.amdhsa_ieee_mode 1
		.amdhsa_fp16_overflow 0
		.amdhsa_workgroup_processor_mode 1
		.amdhsa_memory_ordered 1
		.amdhsa_forward_progress 0
		.amdhsa_shared_vgpr_count 0
		.amdhsa_exception_fp_ieee_invalid_op 0
		.amdhsa_exception_fp_denorm_src 0
		.amdhsa_exception_fp_ieee_div_zero 0
		.amdhsa_exception_fp_ieee_overflow 0
		.amdhsa_exception_fp_ieee_underflow 0
		.amdhsa_exception_fp_ieee_inexact 0
		.amdhsa_exception_int_div_zero 0
	.end_amdhsa_kernel
	.section	.text._ZN7rocprim17ROCPRIM_400000_NS6detail17trampoline_kernelINS0_14default_configENS1_22reduce_config_selectorIN6thrust23THRUST_200600_302600_NS5tupleIbffNS6_9null_typeES8_S8_S8_S8_S8_S8_EEEEZNS1_11reduce_implILb1ES3_PS9_SC_S9_12reduce_tupleIifEEE10hipError_tPvRmT1_T2_T3_mT4_P12ihipStream_tbEUlT_E0_NS1_11comp_targetILNS1_3genE8ELNS1_11target_archE1030ELNS1_3gpuE2ELNS1_3repE0EEENS1_30default_config_static_selectorELNS0_4arch9wavefront6targetE0EEEvSI_,"axG",@progbits,_ZN7rocprim17ROCPRIM_400000_NS6detail17trampoline_kernelINS0_14default_configENS1_22reduce_config_selectorIN6thrust23THRUST_200600_302600_NS5tupleIbffNS6_9null_typeES8_S8_S8_S8_S8_S8_EEEEZNS1_11reduce_implILb1ES3_PS9_SC_S9_12reduce_tupleIifEEE10hipError_tPvRmT1_T2_T3_mT4_P12ihipStream_tbEUlT_E0_NS1_11comp_targetILNS1_3genE8ELNS1_11target_archE1030ELNS1_3gpuE2ELNS1_3repE0EEENS1_30default_config_static_selectorELNS0_4arch9wavefront6targetE0EEEvSI_,comdat
.Lfunc_end9:
	.size	_ZN7rocprim17ROCPRIM_400000_NS6detail17trampoline_kernelINS0_14default_configENS1_22reduce_config_selectorIN6thrust23THRUST_200600_302600_NS5tupleIbffNS6_9null_typeES8_S8_S8_S8_S8_S8_EEEEZNS1_11reduce_implILb1ES3_PS9_SC_S9_12reduce_tupleIifEEE10hipError_tPvRmT1_T2_T3_mT4_P12ihipStream_tbEUlT_E0_NS1_11comp_targetILNS1_3genE8ELNS1_11target_archE1030ELNS1_3gpuE2ELNS1_3repE0EEENS1_30default_config_static_selectorELNS0_4arch9wavefront6targetE0EEEvSI_, .Lfunc_end9-_ZN7rocprim17ROCPRIM_400000_NS6detail17trampoline_kernelINS0_14default_configENS1_22reduce_config_selectorIN6thrust23THRUST_200600_302600_NS5tupleIbffNS6_9null_typeES8_S8_S8_S8_S8_S8_EEEEZNS1_11reduce_implILb1ES3_PS9_SC_S9_12reduce_tupleIifEEE10hipError_tPvRmT1_T2_T3_mT4_P12ihipStream_tbEUlT_E0_NS1_11comp_targetILNS1_3genE8ELNS1_11target_archE1030ELNS1_3gpuE2ELNS1_3repE0EEENS1_30default_config_static_selectorELNS0_4arch9wavefront6targetE0EEEvSI_
                                        ; -- End function
	.section	.AMDGPU.csdata,"",@progbits
; Kernel info:
; codeLenInByte = 0
; NumSgprs: 0
; NumVgprs: 0
; ScratchSize: 0
; MemoryBound: 0
; FloatMode: 240
; IeeeMode: 1
; LDSByteSize: 0 bytes/workgroup (compile time only)
; SGPRBlocks: 0
; VGPRBlocks: 0
; NumSGPRsForWavesPerEU: 1
; NumVGPRsForWavesPerEU: 1
; Occupancy: 16
; WaveLimiterHint : 0
; COMPUTE_PGM_RSRC2:SCRATCH_EN: 0
; COMPUTE_PGM_RSRC2:USER_SGPR: 15
; COMPUTE_PGM_RSRC2:TRAP_HANDLER: 0
; COMPUTE_PGM_RSRC2:TGID_X_EN: 1
; COMPUTE_PGM_RSRC2:TGID_Y_EN: 0
; COMPUTE_PGM_RSRC2:TGID_Z_EN: 0
; COMPUTE_PGM_RSRC2:TIDIG_COMP_CNT: 0
	.section	.text._ZN7rocprim17ROCPRIM_400000_NS6detail17trampoline_kernelINS0_14default_configENS1_22reduce_config_selectorIN6thrust23THRUST_200600_302600_NS5tupleIbffNS6_9null_typeES8_S8_S8_S8_S8_S8_EEEEZNS1_11reduce_implILb1ES3_PS9_SC_S9_12reduce_tupleIifEEE10hipError_tPvRmT1_T2_T3_mT4_P12ihipStream_tbEUlT_E1_NS1_11comp_targetILNS1_3genE0ELNS1_11target_archE4294967295ELNS1_3gpuE0ELNS1_3repE0EEENS1_30default_config_static_selectorELNS0_4arch9wavefront6targetE0EEEvSI_,"axG",@progbits,_ZN7rocprim17ROCPRIM_400000_NS6detail17trampoline_kernelINS0_14default_configENS1_22reduce_config_selectorIN6thrust23THRUST_200600_302600_NS5tupleIbffNS6_9null_typeES8_S8_S8_S8_S8_S8_EEEEZNS1_11reduce_implILb1ES3_PS9_SC_S9_12reduce_tupleIifEEE10hipError_tPvRmT1_T2_T3_mT4_P12ihipStream_tbEUlT_E1_NS1_11comp_targetILNS1_3genE0ELNS1_11target_archE4294967295ELNS1_3gpuE0ELNS1_3repE0EEENS1_30default_config_static_selectorELNS0_4arch9wavefront6targetE0EEEvSI_,comdat
	.protected	_ZN7rocprim17ROCPRIM_400000_NS6detail17trampoline_kernelINS0_14default_configENS1_22reduce_config_selectorIN6thrust23THRUST_200600_302600_NS5tupleIbffNS6_9null_typeES8_S8_S8_S8_S8_S8_EEEEZNS1_11reduce_implILb1ES3_PS9_SC_S9_12reduce_tupleIifEEE10hipError_tPvRmT1_T2_T3_mT4_P12ihipStream_tbEUlT_E1_NS1_11comp_targetILNS1_3genE0ELNS1_11target_archE4294967295ELNS1_3gpuE0ELNS1_3repE0EEENS1_30default_config_static_selectorELNS0_4arch9wavefront6targetE0EEEvSI_ ; -- Begin function _ZN7rocprim17ROCPRIM_400000_NS6detail17trampoline_kernelINS0_14default_configENS1_22reduce_config_selectorIN6thrust23THRUST_200600_302600_NS5tupleIbffNS6_9null_typeES8_S8_S8_S8_S8_S8_EEEEZNS1_11reduce_implILb1ES3_PS9_SC_S9_12reduce_tupleIifEEE10hipError_tPvRmT1_T2_T3_mT4_P12ihipStream_tbEUlT_E1_NS1_11comp_targetILNS1_3genE0ELNS1_11target_archE4294967295ELNS1_3gpuE0ELNS1_3repE0EEENS1_30default_config_static_selectorELNS0_4arch9wavefront6targetE0EEEvSI_
	.globl	_ZN7rocprim17ROCPRIM_400000_NS6detail17trampoline_kernelINS0_14default_configENS1_22reduce_config_selectorIN6thrust23THRUST_200600_302600_NS5tupleIbffNS6_9null_typeES8_S8_S8_S8_S8_S8_EEEEZNS1_11reduce_implILb1ES3_PS9_SC_S9_12reduce_tupleIifEEE10hipError_tPvRmT1_T2_T3_mT4_P12ihipStream_tbEUlT_E1_NS1_11comp_targetILNS1_3genE0ELNS1_11target_archE4294967295ELNS1_3gpuE0ELNS1_3repE0EEENS1_30default_config_static_selectorELNS0_4arch9wavefront6targetE0EEEvSI_
	.p2align	8
	.type	_ZN7rocprim17ROCPRIM_400000_NS6detail17trampoline_kernelINS0_14default_configENS1_22reduce_config_selectorIN6thrust23THRUST_200600_302600_NS5tupleIbffNS6_9null_typeES8_S8_S8_S8_S8_S8_EEEEZNS1_11reduce_implILb1ES3_PS9_SC_S9_12reduce_tupleIifEEE10hipError_tPvRmT1_T2_T3_mT4_P12ihipStream_tbEUlT_E1_NS1_11comp_targetILNS1_3genE0ELNS1_11target_archE4294967295ELNS1_3gpuE0ELNS1_3repE0EEENS1_30default_config_static_selectorELNS0_4arch9wavefront6targetE0EEEvSI_,@function
_ZN7rocprim17ROCPRIM_400000_NS6detail17trampoline_kernelINS0_14default_configENS1_22reduce_config_selectorIN6thrust23THRUST_200600_302600_NS5tupleIbffNS6_9null_typeES8_S8_S8_S8_S8_S8_EEEEZNS1_11reduce_implILb1ES3_PS9_SC_S9_12reduce_tupleIifEEE10hipError_tPvRmT1_T2_T3_mT4_P12ihipStream_tbEUlT_E1_NS1_11comp_targetILNS1_3genE0ELNS1_11target_archE4294967295ELNS1_3gpuE0ELNS1_3repE0EEENS1_30default_config_static_selectorELNS0_4arch9wavefront6targetE0EEEvSI_: ; @_ZN7rocprim17ROCPRIM_400000_NS6detail17trampoline_kernelINS0_14default_configENS1_22reduce_config_selectorIN6thrust23THRUST_200600_302600_NS5tupleIbffNS6_9null_typeES8_S8_S8_S8_S8_S8_EEEEZNS1_11reduce_implILb1ES3_PS9_SC_S9_12reduce_tupleIifEEE10hipError_tPvRmT1_T2_T3_mT4_P12ihipStream_tbEUlT_E1_NS1_11comp_targetILNS1_3genE0ELNS1_11target_archE4294967295ELNS1_3gpuE0ELNS1_3repE0EEENS1_30default_config_static_selectorELNS0_4arch9wavefront6targetE0EEEvSI_
; %bb.0:
	.section	.rodata,"a",@progbits
	.p2align	6, 0x0
	.amdhsa_kernel _ZN7rocprim17ROCPRIM_400000_NS6detail17trampoline_kernelINS0_14default_configENS1_22reduce_config_selectorIN6thrust23THRUST_200600_302600_NS5tupleIbffNS6_9null_typeES8_S8_S8_S8_S8_S8_EEEEZNS1_11reduce_implILb1ES3_PS9_SC_S9_12reduce_tupleIifEEE10hipError_tPvRmT1_T2_T3_mT4_P12ihipStream_tbEUlT_E1_NS1_11comp_targetILNS1_3genE0ELNS1_11target_archE4294967295ELNS1_3gpuE0ELNS1_3repE0EEENS1_30default_config_static_selectorELNS0_4arch9wavefront6targetE0EEEvSI_
		.amdhsa_group_segment_fixed_size 0
		.amdhsa_private_segment_fixed_size 0
		.amdhsa_kernarg_size 48
		.amdhsa_user_sgpr_count 15
		.amdhsa_user_sgpr_dispatch_ptr 0
		.amdhsa_user_sgpr_queue_ptr 0
		.amdhsa_user_sgpr_kernarg_segment_ptr 1
		.amdhsa_user_sgpr_dispatch_id 0
		.amdhsa_user_sgpr_private_segment_size 0
		.amdhsa_wavefront_size32 1
		.amdhsa_uses_dynamic_stack 0
		.amdhsa_enable_private_segment 0
		.amdhsa_system_sgpr_workgroup_id_x 1
		.amdhsa_system_sgpr_workgroup_id_y 0
		.amdhsa_system_sgpr_workgroup_id_z 0
		.amdhsa_system_sgpr_workgroup_info 0
		.amdhsa_system_vgpr_workitem_id 0
		.amdhsa_next_free_vgpr 1
		.amdhsa_next_free_sgpr 1
		.amdhsa_reserve_vcc 0
		.amdhsa_float_round_mode_32 0
		.amdhsa_float_round_mode_16_64 0
		.amdhsa_float_denorm_mode_32 3
		.amdhsa_float_denorm_mode_16_64 3
		.amdhsa_dx10_clamp 1
		.amdhsa_ieee_mode 1
		.amdhsa_fp16_overflow 0
		.amdhsa_workgroup_processor_mode 1
		.amdhsa_memory_ordered 1
		.amdhsa_forward_progress 0
		.amdhsa_shared_vgpr_count 0
		.amdhsa_exception_fp_ieee_invalid_op 0
		.amdhsa_exception_fp_denorm_src 0
		.amdhsa_exception_fp_ieee_div_zero 0
		.amdhsa_exception_fp_ieee_overflow 0
		.amdhsa_exception_fp_ieee_underflow 0
		.amdhsa_exception_fp_ieee_inexact 0
		.amdhsa_exception_int_div_zero 0
	.end_amdhsa_kernel
	.section	.text._ZN7rocprim17ROCPRIM_400000_NS6detail17trampoline_kernelINS0_14default_configENS1_22reduce_config_selectorIN6thrust23THRUST_200600_302600_NS5tupleIbffNS6_9null_typeES8_S8_S8_S8_S8_S8_EEEEZNS1_11reduce_implILb1ES3_PS9_SC_S9_12reduce_tupleIifEEE10hipError_tPvRmT1_T2_T3_mT4_P12ihipStream_tbEUlT_E1_NS1_11comp_targetILNS1_3genE0ELNS1_11target_archE4294967295ELNS1_3gpuE0ELNS1_3repE0EEENS1_30default_config_static_selectorELNS0_4arch9wavefront6targetE0EEEvSI_,"axG",@progbits,_ZN7rocprim17ROCPRIM_400000_NS6detail17trampoline_kernelINS0_14default_configENS1_22reduce_config_selectorIN6thrust23THRUST_200600_302600_NS5tupleIbffNS6_9null_typeES8_S8_S8_S8_S8_S8_EEEEZNS1_11reduce_implILb1ES3_PS9_SC_S9_12reduce_tupleIifEEE10hipError_tPvRmT1_T2_T3_mT4_P12ihipStream_tbEUlT_E1_NS1_11comp_targetILNS1_3genE0ELNS1_11target_archE4294967295ELNS1_3gpuE0ELNS1_3repE0EEENS1_30default_config_static_selectorELNS0_4arch9wavefront6targetE0EEEvSI_,comdat
.Lfunc_end10:
	.size	_ZN7rocprim17ROCPRIM_400000_NS6detail17trampoline_kernelINS0_14default_configENS1_22reduce_config_selectorIN6thrust23THRUST_200600_302600_NS5tupleIbffNS6_9null_typeES8_S8_S8_S8_S8_S8_EEEEZNS1_11reduce_implILb1ES3_PS9_SC_S9_12reduce_tupleIifEEE10hipError_tPvRmT1_T2_T3_mT4_P12ihipStream_tbEUlT_E1_NS1_11comp_targetILNS1_3genE0ELNS1_11target_archE4294967295ELNS1_3gpuE0ELNS1_3repE0EEENS1_30default_config_static_selectorELNS0_4arch9wavefront6targetE0EEEvSI_, .Lfunc_end10-_ZN7rocprim17ROCPRIM_400000_NS6detail17trampoline_kernelINS0_14default_configENS1_22reduce_config_selectorIN6thrust23THRUST_200600_302600_NS5tupleIbffNS6_9null_typeES8_S8_S8_S8_S8_S8_EEEEZNS1_11reduce_implILb1ES3_PS9_SC_S9_12reduce_tupleIifEEE10hipError_tPvRmT1_T2_T3_mT4_P12ihipStream_tbEUlT_E1_NS1_11comp_targetILNS1_3genE0ELNS1_11target_archE4294967295ELNS1_3gpuE0ELNS1_3repE0EEENS1_30default_config_static_selectorELNS0_4arch9wavefront6targetE0EEEvSI_
                                        ; -- End function
	.section	.AMDGPU.csdata,"",@progbits
; Kernel info:
; codeLenInByte = 0
; NumSgprs: 0
; NumVgprs: 0
; ScratchSize: 0
; MemoryBound: 0
; FloatMode: 240
; IeeeMode: 1
; LDSByteSize: 0 bytes/workgroup (compile time only)
; SGPRBlocks: 0
; VGPRBlocks: 0
; NumSGPRsForWavesPerEU: 1
; NumVGPRsForWavesPerEU: 1
; Occupancy: 16
; WaveLimiterHint : 0
; COMPUTE_PGM_RSRC2:SCRATCH_EN: 0
; COMPUTE_PGM_RSRC2:USER_SGPR: 15
; COMPUTE_PGM_RSRC2:TRAP_HANDLER: 0
; COMPUTE_PGM_RSRC2:TGID_X_EN: 1
; COMPUTE_PGM_RSRC2:TGID_Y_EN: 0
; COMPUTE_PGM_RSRC2:TGID_Z_EN: 0
; COMPUTE_PGM_RSRC2:TIDIG_COMP_CNT: 0
	.section	.text._ZN7rocprim17ROCPRIM_400000_NS6detail17trampoline_kernelINS0_14default_configENS1_22reduce_config_selectorIN6thrust23THRUST_200600_302600_NS5tupleIbffNS6_9null_typeES8_S8_S8_S8_S8_S8_EEEEZNS1_11reduce_implILb1ES3_PS9_SC_S9_12reduce_tupleIifEEE10hipError_tPvRmT1_T2_T3_mT4_P12ihipStream_tbEUlT_E1_NS1_11comp_targetILNS1_3genE5ELNS1_11target_archE942ELNS1_3gpuE9ELNS1_3repE0EEENS1_30default_config_static_selectorELNS0_4arch9wavefront6targetE0EEEvSI_,"axG",@progbits,_ZN7rocprim17ROCPRIM_400000_NS6detail17trampoline_kernelINS0_14default_configENS1_22reduce_config_selectorIN6thrust23THRUST_200600_302600_NS5tupleIbffNS6_9null_typeES8_S8_S8_S8_S8_S8_EEEEZNS1_11reduce_implILb1ES3_PS9_SC_S9_12reduce_tupleIifEEE10hipError_tPvRmT1_T2_T3_mT4_P12ihipStream_tbEUlT_E1_NS1_11comp_targetILNS1_3genE5ELNS1_11target_archE942ELNS1_3gpuE9ELNS1_3repE0EEENS1_30default_config_static_selectorELNS0_4arch9wavefront6targetE0EEEvSI_,comdat
	.protected	_ZN7rocprim17ROCPRIM_400000_NS6detail17trampoline_kernelINS0_14default_configENS1_22reduce_config_selectorIN6thrust23THRUST_200600_302600_NS5tupleIbffNS6_9null_typeES8_S8_S8_S8_S8_S8_EEEEZNS1_11reduce_implILb1ES3_PS9_SC_S9_12reduce_tupleIifEEE10hipError_tPvRmT1_T2_T3_mT4_P12ihipStream_tbEUlT_E1_NS1_11comp_targetILNS1_3genE5ELNS1_11target_archE942ELNS1_3gpuE9ELNS1_3repE0EEENS1_30default_config_static_selectorELNS0_4arch9wavefront6targetE0EEEvSI_ ; -- Begin function _ZN7rocprim17ROCPRIM_400000_NS6detail17trampoline_kernelINS0_14default_configENS1_22reduce_config_selectorIN6thrust23THRUST_200600_302600_NS5tupleIbffNS6_9null_typeES8_S8_S8_S8_S8_S8_EEEEZNS1_11reduce_implILb1ES3_PS9_SC_S9_12reduce_tupleIifEEE10hipError_tPvRmT1_T2_T3_mT4_P12ihipStream_tbEUlT_E1_NS1_11comp_targetILNS1_3genE5ELNS1_11target_archE942ELNS1_3gpuE9ELNS1_3repE0EEENS1_30default_config_static_selectorELNS0_4arch9wavefront6targetE0EEEvSI_
	.globl	_ZN7rocprim17ROCPRIM_400000_NS6detail17trampoline_kernelINS0_14default_configENS1_22reduce_config_selectorIN6thrust23THRUST_200600_302600_NS5tupleIbffNS6_9null_typeES8_S8_S8_S8_S8_S8_EEEEZNS1_11reduce_implILb1ES3_PS9_SC_S9_12reduce_tupleIifEEE10hipError_tPvRmT1_T2_T3_mT4_P12ihipStream_tbEUlT_E1_NS1_11comp_targetILNS1_3genE5ELNS1_11target_archE942ELNS1_3gpuE9ELNS1_3repE0EEENS1_30default_config_static_selectorELNS0_4arch9wavefront6targetE0EEEvSI_
	.p2align	8
	.type	_ZN7rocprim17ROCPRIM_400000_NS6detail17trampoline_kernelINS0_14default_configENS1_22reduce_config_selectorIN6thrust23THRUST_200600_302600_NS5tupleIbffNS6_9null_typeES8_S8_S8_S8_S8_S8_EEEEZNS1_11reduce_implILb1ES3_PS9_SC_S9_12reduce_tupleIifEEE10hipError_tPvRmT1_T2_T3_mT4_P12ihipStream_tbEUlT_E1_NS1_11comp_targetILNS1_3genE5ELNS1_11target_archE942ELNS1_3gpuE9ELNS1_3repE0EEENS1_30default_config_static_selectorELNS0_4arch9wavefront6targetE0EEEvSI_,@function
_ZN7rocprim17ROCPRIM_400000_NS6detail17trampoline_kernelINS0_14default_configENS1_22reduce_config_selectorIN6thrust23THRUST_200600_302600_NS5tupleIbffNS6_9null_typeES8_S8_S8_S8_S8_S8_EEEEZNS1_11reduce_implILb1ES3_PS9_SC_S9_12reduce_tupleIifEEE10hipError_tPvRmT1_T2_T3_mT4_P12ihipStream_tbEUlT_E1_NS1_11comp_targetILNS1_3genE5ELNS1_11target_archE942ELNS1_3gpuE9ELNS1_3repE0EEENS1_30default_config_static_selectorELNS0_4arch9wavefront6targetE0EEEvSI_: ; @_ZN7rocprim17ROCPRIM_400000_NS6detail17trampoline_kernelINS0_14default_configENS1_22reduce_config_selectorIN6thrust23THRUST_200600_302600_NS5tupleIbffNS6_9null_typeES8_S8_S8_S8_S8_S8_EEEEZNS1_11reduce_implILb1ES3_PS9_SC_S9_12reduce_tupleIifEEE10hipError_tPvRmT1_T2_T3_mT4_P12ihipStream_tbEUlT_E1_NS1_11comp_targetILNS1_3genE5ELNS1_11target_archE942ELNS1_3gpuE9ELNS1_3repE0EEENS1_30default_config_static_selectorELNS0_4arch9wavefront6targetE0EEEvSI_
; %bb.0:
	.section	.rodata,"a",@progbits
	.p2align	6, 0x0
	.amdhsa_kernel _ZN7rocprim17ROCPRIM_400000_NS6detail17trampoline_kernelINS0_14default_configENS1_22reduce_config_selectorIN6thrust23THRUST_200600_302600_NS5tupleIbffNS6_9null_typeES8_S8_S8_S8_S8_S8_EEEEZNS1_11reduce_implILb1ES3_PS9_SC_S9_12reduce_tupleIifEEE10hipError_tPvRmT1_T2_T3_mT4_P12ihipStream_tbEUlT_E1_NS1_11comp_targetILNS1_3genE5ELNS1_11target_archE942ELNS1_3gpuE9ELNS1_3repE0EEENS1_30default_config_static_selectorELNS0_4arch9wavefront6targetE0EEEvSI_
		.amdhsa_group_segment_fixed_size 0
		.amdhsa_private_segment_fixed_size 0
		.amdhsa_kernarg_size 48
		.amdhsa_user_sgpr_count 15
		.amdhsa_user_sgpr_dispatch_ptr 0
		.amdhsa_user_sgpr_queue_ptr 0
		.amdhsa_user_sgpr_kernarg_segment_ptr 1
		.amdhsa_user_sgpr_dispatch_id 0
		.amdhsa_user_sgpr_private_segment_size 0
		.amdhsa_wavefront_size32 1
		.amdhsa_uses_dynamic_stack 0
		.amdhsa_enable_private_segment 0
		.amdhsa_system_sgpr_workgroup_id_x 1
		.amdhsa_system_sgpr_workgroup_id_y 0
		.amdhsa_system_sgpr_workgroup_id_z 0
		.amdhsa_system_sgpr_workgroup_info 0
		.amdhsa_system_vgpr_workitem_id 0
		.amdhsa_next_free_vgpr 1
		.amdhsa_next_free_sgpr 1
		.amdhsa_reserve_vcc 0
		.amdhsa_float_round_mode_32 0
		.amdhsa_float_round_mode_16_64 0
		.amdhsa_float_denorm_mode_32 3
		.amdhsa_float_denorm_mode_16_64 3
		.amdhsa_dx10_clamp 1
		.amdhsa_ieee_mode 1
		.amdhsa_fp16_overflow 0
		.amdhsa_workgroup_processor_mode 1
		.amdhsa_memory_ordered 1
		.amdhsa_forward_progress 0
		.amdhsa_shared_vgpr_count 0
		.amdhsa_exception_fp_ieee_invalid_op 0
		.amdhsa_exception_fp_denorm_src 0
		.amdhsa_exception_fp_ieee_div_zero 0
		.amdhsa_exception_fp_ieee_overflow 0
		.amdhsa_exception_fp_ieee_underflow 0
		.amdhsa_exception_fp_ieee_inexact 0
		.amdhsa_exception_int_div_zero 0
	.end_amdhsa_kernel
	.section	.text._ZN7rocprim17ROCPRIM_400000_NS6detail17trampoline_kernelINS0_14default_configENS1_22reduce_config_selectorIN6thrust23THRUST_200600_302600_NS5tupleIbffNS6_9null_typeES8_S8_S8_S8_S8_S8_EEEEZNS1_11reduce_implILb1ES3_PS9_SC_S9_12reduce_tupleIifEEE10hipError_tPvRmT1_T2_T3_mT4_P12ihipStream_tbEUlT_E1_NS1_11comp_targetILNS1_3genE5ELNS1_11target_archE942ELNS1_3gpuE9ELNS1_3repE0EEENS1_30default_config_static_selectorELNS0_4arch9wavefront6targetE0EEEvSI_,"axG",@progbits,_ZN7rocprim17ROCPRIM_400000_NS6detail17trampoline_kernelINS0_14default_configENS1_22reduce_config_selectorIN6thrust23THRUST_200600_302600_NS5tupleIbffNS6_9null_typeES8_S8_S8_S8_S8_S8_EEEEZNS1_11reduce_implILb1ES3_PS9_SC_S9_12reduce_tupleIifEEE10hipError_tPvRmT1_T2_T3_mT4_P12ihipStream_tbEUlT_E1_NS1_11comp_targetILNS1_3genE5ELNS1_11target_archE942ELNS1_3gpuE9ELNS1_3repE0EEENS1_30default_config_static_selectorELNS0_4arch9wavefront6targetE0EEEvSI_,comdat
.Lfunc_end11:
	.size	_ZN7rocprim17ROCPRIM_400000_NS6detail17trampoline_kernelINS0_14default_configENS1_22reduce_config_selectorIN6thrust23THRUST_200600_302600_NS5tupleIbffNS6_9null_typeES8_S8_S8_S8_S8_S8_EEEEZNS1_11reduce_implILb1ES3_PS9_SC_S9_12reduce_tupleIifEEE10hipError_tPvRmT1_T2_T3_mT4_P12ihipStream_tbEUlT_E1_NS1_11comp_targetILNS1_3genE5ELNS1_11target_archE942ELNS1_3gpuE9ELNS1_3repE0EEENS1_30default_config_static_selectorELNS0_4arch9wavefront6targetE0EEEvSI_, .Lfunc_end11-_ZN7rocprim17ROCPRIM_400000_NS6detail17trampoline_kernelINS0_14default_configENS1_22reduce_config_selectorIN6thrust23THRUST_200600_302600_NS5tupleIbffNS6_9null_typeES8_S8_S8_S8_S8_S8_EEEEZNS1_11reduce_implILb1ES3_PS9_SC_S9_12reduce_tupleIifEEE10hipError_tPvRmT1_T2_T3_mT4_P12ihipStream_tbEUlT_E1_NS1_11comp_targetILNS1_3genE5ELNS1_11target_archE942ELNS1_3gpuE9ELNS1_3repE0EEENS1_30default_config_static_selectorELNS0_4arch9wavefront6targetE0EEEvSI_
                                        ; -- End function
	.section	.AMDGPU.csdata,"",@progbits
; Kernel info:
; codeLenInByte = 0
; NumSgprs: 0
; NumVgprs: 0
; ScratchSize: 0
; MemoryBound: 0
; FloatMode: 240
; IeeeMode: 1
; LDSByteSize: 0 bytes/workgroup (compile time only)
; SGPRBlocks: 0
; VGPRBlocks: 0
; NumSGPRsForWavesPerEU: 1
; NumVGPRsForWavesPerEU: 1
; Occupancy: 16
; WaveLimiterHint : 0
; COMPUTE_PGM_RSRC2:SCRATCH_EN: 0
; COMPUTE_PGM_RSRC2:USER_SGPR: 15
; COMPUTE_PGM_RSRC2:TRAP_HANDLER: 0
; COMPUTE_PGM_RSRC2:TGID_X_EN: 1
; COMPUTE_PGM_RSRC2:TGID_Y_EN: 0
; COMPUTE_PGM_RSRC2:TGID_Z_EN: 0
; COMPUTE_PGM_RSRC2:TIDIG_COMP_CNT: 0
	.section	.text._ZN7rocprim17ROCPRIM_400000_NS6detail17trampoline_kernelINS0_14default_configENS1_22reduce_config_selectorIN6thrust23THRUST_200600_302600_NS5tupleIbffNS6_9null_typeES8_S8_S8_S8_S8_S8_EEEEZNS1_11reduce_implILb1ES3_PS9_SC_S9_12reduce_tupleIifEEE10hipError_tPvRmT1_T2_T3_mT4_P12ihipStream_tbEUlT_E1_NS1_11comp_targetILNS1_3genE4ELNS1_11target_archE910ELNS1_3gpuE8ELNS1_3repE0EEENS1_30default_config_static_selectorELNS0_4arch9wavefront6targetE0EEEvSI_,"axG",@progbits,_ZN7rocprim17ROCPRIM_400000_NS6detail17trampoline_kernelINS0_14default_configENS1_22reduce_config_selectorIN6thrust23THRUST_200600_302600_NS5tupleIbffNS6_9null_typeES8_S8_S8_S8_S8_S8_EEEEZNS1_11reduce_implILb1ES3_PS9_SC_S9_12reduce_tupleIifEEE10hipError_tPvRmT1_T2_T3_mT4_P12ihipStream_tbEUlT_E1_NS1_11comp_targetILNS1_3genE4ELNS1_11target_archE910ELNS1_3gpuE8ELNS1_3repE0EEENS1_30default_config_static_selectorELNS0_4arch9wavefront6targetE0EEEvSI_,comdat
	.protected	_ZN7rocprim17ROCPRIM_400000_NS6detail17trampoline_kernelINS0_14default_configENS1_22reduce_config_selectorIN6thrust23THRUST_200600_302600_NS5tupleIbffNS6_9null_typeES8_S8_S8_S8_S8_S8_EEEEZNS1_11reduce_implILb1ES3_PS9_SC_S9_12reduce_tupleIifEEE10hipError_tPvRmT1_T2_T3_mT4_P12ihipStream_tbEUlT_E1_NS1_11comp_targetILNS1_3genE4ELNS1_11target_archE910ELNS1_3gpuE8ELNS1_3repE0EEENS1_30default_config_static_selectorELNS0_4arch9wavefront6targetE0EEEvSI_ ; -- Begin function _ZN7rocprim17ROCPRIM_400000_NS6detail17trampoline_kernelINS0_14default_configENS1_22reduce_config_selectorIN6thrust23THRUST_200600_302600_NS5tupleIbffNS6_9null_typeES8_S8_S8_S8_S8_S8_EEEEZNS1_11reduce_implILb1ES3_PS9_SC_S9_12reduce_tupleIifEEE10hipError_tPvRmT1_T2_T3_mT4_P12ihipStream_tbEUlT_E1_NS1_11comp_targetILNS1_3genE4ELNS1_11target_archE910ELNS1_3gpuE8ELNS1_3repE0EEENS1_30default_config_static_selectorELNS0_4arch9wavefront6targetE0EEEvSI_
	.globl	_ZN7rocprim17ROCPRIM_400000_NS6detail17trampoline_kernelINS0_14default_configENS1_22reduce_config_selectorIN6thrust23THRUST_200600_302600_NS5tupleIbffNS6_9null_typeES8_S8_S8_S8_S8_S8_EEEEZNS1_11reduce_implILb1ES3_PS9_SC_S9_12reduce_tupleIifEEE10hipError_tPvRmT1_T2_T3_mT4_P12ihipStream_tbEUlT_E1_NS1_11comp_targetILNS1_3genE4ELNS1_11target_archE910ELNS1_3gpuE8ELNS1_3repE0EEENS1_30default_config_static_selectorELNS0_4arch9wavefront6targetE0EEEvSI_
	.p2align	8
	.type	_ZN7rocprim17ROCPRIM_400000_NS6detail17trampoline_kernelINS0_14default_configENS1_22reduce_config_selectorIN6thrust23THRUST_200600_302600_NS5tupleIbffNS6_9null_typeES8_S8_S8_S8_S8_S8_EEEEZNS1_11reduce_implILb1ES3_PS9_SC_S9_12reduce_tupleIifEEE10hipError_tPvRmT1_T2_T3_mT4_P12ihipStream_tbEUlT_E1_NS1_11comp_targetILNS1_3genE4ELNS1_11target_archE910ELNS1_3gpuE8ELNS1_3repE0EEENS1_30default_config_static_selectorELNS0_4arch9wavefront6targetE0EEEvSI_,@function
_ZN7rocprim17ROCPRIM_400000_NS6detail17trampoline_kernelINS0_14default_configENS1_22reduce_config_selectorIN6thrust23THRUST_200600_302600_NS5tupleIbffNS6_9null_typeES8_S8_S8_S8_S8_S8_EEEEZNS1_11reduce_implILb1ES3_PS9_SC_S9_12reduce_tupleIifEEE10hipError_tPvRmT1_T2_T3_mT4_P12ihipStream_tbEUlT_E1_NS1_11comp_targetILNS1_3genE4ELNS1_11target_archE910ELNS1_3gpuE8ELNS1_3repE0EEENS1_30default_config_static_selectorELNS0_4arch9wavefront6targetE0EEEvSI_: ; @_ZN7rocprim17ROCPRIM_400000_NS6detail17trampoline_kernelINS0_14default_configENS1_22reduce_config_selectorIN6thrust23THRUST_200600_302600_NS5tupleIbffNS6_9null_typeES8_S8_S8_S8_S8_S8_EEEEZNS1_11reduce_implILb1ES3_PS9_SC_S9_12reduce_tupleIifEEE10hipError_tPvRmT1_T2_T3_mT4_P12ihipStream_tbEUlT_E1_NS1_11comp_targetILNS1_3genE4ELNS1_11target_archE910ELNS1_3gpuE8ELNS1_3repE0EEENS1_30default_config_static_selectorELNS0_4arch9wavefront6targetE0EEEvSI_
; %bb.0:
	.section	.rodata,"a",@progbits
	.p2align	6, 0x0
	.amdhsa_kernel _ZN7rocprim17ROCPRIM_400000_NS6detail17trampoline_kernelINS0_14default_configENS1_22reduce_config_selectorIN6thrust23THRUST_200600_302600_NS5tupleIbffNS6_9null_typeES8_S8_S8_S8_S8_S8_EEEEZNS1_11reduce_implILb1ES3_PS9_SC_S9_12reduce_tupleIifEEE10hipError_tPvRmT1_T2_T3_mT4_P12ihipStream_tbEUlT_E1_NS1_11comp_targetILNS1_3genE4ELNS1_11target_archE910ELNS1_3gpuE8ELNS1_3repE0EEENS1_30default_config_static_selectorELNS0_4arch9wavefront6targetE0EEEvSI_
		.amdhsa_group_segment_fixed_size 0
		.amdhsa_private_segment_fixed_size 0
		.amdhsa_kernarg_size 48
		.amdhsa_user_sgpr_count 15
		.amdhsa_user_sgpr_dispatch_ptr 0
		.amdhsa_user_sgpr_queue_ptr 0
		.amdhsa_user_sgpr_kernarg_segment_ptr 1
		.amdhsa_user_sgpr_dispatch_id 0
		.amdhsa_user_sgpr_private_segment_size 0
		.amdhsa_wavefront_size32 1
		.amdhsa_uses_dynamic_stack 0
		.amdhsa_enable_private_segment 0
		.amdhsa_system_sgpr_workgroup_id_x 1
		.amdhsa_system_sgpr_workgroup_id_y 0
		.amdhsa_system_sgpr_workgroup_id_z 0
		.amdhsa_system_sgpr_workgroup_info 0
		.amdhsa_system_vgpr_workitem_id 0
		.amdhsa_next_free_vgpr 1
		.amdhsa_next_free_sgpr 1
		.amdhsa_reserve_vcc 0
		.amdhsa_float_round_mode_32 0
		.amdhsa_float_round_mode_16_64 0
		.amdhsa_float_denorm_mode_32 3
		.amdhsa_float_denorm_mode_16_64 3
		.amdhsa_dx10_clamp 1
		.amdhsa_ieee_mode 1
		.amdhsa_fp16_overflow 0
		.amdhsa_workgroup_processor_mode 1
		.amdhsa_memory_ordered 1
		.amdhsa_forward_progress 0
		.amdhsa_shared_vgpr_count 0
		.amdhsa_exception_fp_ieee_invalid_op 0
		.amdhsa_exception_fp_denorm_src 0
		.amdhsa_exception_fp_ieee_div_zero 0
		.amdhsa_exception_fp_ieee_overflow 0
		.amdhsa_exception_fp_ieee_underflow 0
		.amdhsa_exception_fp_ieee_inexact 0
		.amdhsa_exception_int_div_zero 0
	.end_amdhsa_kernel
	.section	.text._ZN7rocprim17ROCPRIM_400000_NS6detail17trampoline_kernelINS0_14default_configENS1_22reduce_config_selectorIN6thrust23THRUST_200600_302600_NS5tupleIbffNS6_9null_typeES8_S8_S8_S8_S8_S8_EEEEZNS1_11reduce_implILb1ES3_PS9_SC_S9_12reduce_tupleIifEEE10hipError_tPvRmT1_T2_T3_mT4_P12ihipStream_tbEUlT_E1_NS1_11comp_targetILNS1_3genE4ELNS1_11target_archE910ELNS1_3gpuE8ELNS1_3repE0EEENS1_30default_config_static_selectorELNS0_4arch9wavefront6targetE0EEEvSI_,"axG",@progbits,_ZN7rocprim17ROCPRIM_400000_NS6detail17trampoline_kernelINS0_14default_configENS1_22reduce_config_selectorIN6thrust23THRUST_200600_302600_NS5tupleIbffNS6_9null_typeES8_S8_S8_S8_S8_S8_EEEEZNS1_11reduce_implILb1ES3_PS9_SC_S9_12reduce_tupleIifEEE10hipError_tPvRmT1_T2_T3_mT4_P12ihipStream_tbEUlT_E1_NS1_11comp_targetILNS1_3genE4ELNS1_11target_archE910ELNS1_3gpuE8ELNS1_3repE0EEENS1_30default_config_static_selectorELNS0_4arch9wavefront6targetE0EEEvSI_,comdat
.Lfunc_end12:
	.size	_ZN7rocprim17ROCPRIM_400000_NS6detail17trampoline_kernelINS0_14default_configENS1_22reduce_config_selectorIN6thrust23THRUST_200600_302600_NS5tupleIbffNS6_9null_typeES8_S8_S8_S8_S8_S8_EEEEZNS1_11reduce_implILb1ES3_PS9_SC_S9_12reduce_tupleIifEEE10hipError_tPvRmT1_T2_T3_mT4_P12ihipStream_tbEUlT_E1_NS1_11comp_targetILNS1_3genE4ELNS1_11target_archE910ELNS1_3gpuE8ELNS1_3repE0EEENS1_30default_config_static_selectorELNS0_4arch9wavefront6targetE0EEEvSI_, .Lfunc_end12-_ZN7rocprim17ROCPRIM_400000_NS6detail17trampoline_kernelINS0_14default_configENS1_22reduce_config_selectorIN6thrust23THRUST_200600_302600_NS5tupleIbffNS6_9null_typeES8_S8_S8_S8_S8_S8_EEEEZNS1_11reduce_implILb1ES3_PS9_SC_S9_12reduce_tupleIifEEE10hipError_tPvRmT1_T2_T3_mT4_P12ihipStream_tbEUlT_E1_NS1_11comp_targetILNS1_3genE4ELNS1_11target_archE910ELNS1_3gpuE8ELNS1_3repE0EEENS1_30default_config_static_selectorELNS0_4arch9wavefront6targetE0EEEvSI_
                                        ; -- End function
	.section	.AMDGPU.csdata,"",@progbits
; Kernel info:
; codeLenInByte = 0
; NumSgprs: 0
; NumVgprs: 0
; ScratchSize: 0
; MemoryBound: 0
; FloatMode: 240
; IeeeMode: 1
; LDSByteSize: 0 bytes/workgroup (compile time only)
; SGPRBlocks: 0
; VGPRBlocks: 0
; NumSGPRsForWavesPerEU: 1
; NumVGPRsForWavesPerEU: 1
; Occupancy: 16
; WaveLimiterHint : 0
; COMPUTE_PGM_RSRC2:SCRATCH_EN: 0
; COMPUTE_PGM_RSRC2:USER_SGPR: 15
; COMPUTE_PGM_RSRC2:TRAP_HANDLER: 0
; COMPUTE_PGM_RSRC2:TGID_X_EN: 1
; COMPUTE_PGM_RSRC2:TGID_Y_EN: 0
; COMPUTE_PGM_RSRC2:TGID_Z_EN: 0
; COMPUTE_PGM_RSRC2:TIDIG_COMP_CNT: 0
	.section	.text._ZN7rocprim17ROCPRIM_400000_NS6detail17trampoline_kernelINS0_14default_configENS1_22reduce_config_selectorIN6thrust23THRUST_200600_302600_NS5tupleIbffNS6_9null_typeES8_S8_S8_S8_S8_S8_EEEEZNS1_11reduce_implILb1ES3_PS9_SC_S9_12reduce_tupleIifEEE10hipError_tPvRmT1_T2_T3_mT4_P12ihipStream_tbEUlT_E1_NS1_11comp_targetILNS1_3genE3ELNS1_11target_archE908ELNS1_3gpuE7ELNS1_3repE0EEENS1_30default_config_static_selectorELNS0_4arch9wavefront6targetE0EEEvSI_,"axG",@progbits,_ZN7rocprim17ROCPRIM_400000_NS6detail17trampoline_kernelINS0_14default_configENS1_22reduce_config_selectorIN6thrust23THRUST_200600_302600_NS5tupleIbffNS6_9null_typeES8_S8_S8_S8_S8_S8_EEEEZNS1_11reduce_implILb1ES3_PS9_SC_S9_12reduce_tupleIifEEE10hipError_tPvRmT1_T2_T3_mT4_P12ihipStream_tbEUlT_E1_NS1_11comp_targetILNS1_3genE3ELNS1_11target_archE908ELNS1_3gpuE7ELNS1_3repE0EEENS1_30default_config_static_selectorELNS0_4arch9wavefront6targetE0EEEvSI_,comdat
	.protected	_ZN7rocprim17ROCPRIM_400000_NS6detail17trampoline_kernelINS0_14default_configENS1_22reduce_config_selectorIN6thrust23THRUST_200600_302600_NS5tupleIbffNS6_9null_typeES8_S8_S8_S8_S8_S8_EEEEZNS1_11reduce_implILb1ES3_PS9_SC_S9_12reduce_tupleIifEEE10hipError_tPvRmT1_T2_T3_mT4_P12ihipStream_tbEUlT_E1_NS1_11comp_targetILNS1_3genE3ELNS1_11target_archE908ELNS1_3gpuE7ELNS1_3repE0EEENS1_30default_config_static_selectorELNS0_4arch9wavefront6targetE0EEEvSI_ ; -- Begin function _ZN7rocprim17ROCPRIM_400000_NS6detail17trampoline_kernelINS0_14default_configENS1_22reduce_config_selectorIN6thrust23THRUST_200600_302600_NS5tupleIbffNS6_9null_typeES8_S8_S8_S8_S8_S8_EEEEZNS1_11reduce_implILb1ES3_PS9_SC_S9_12reduce_tupleIifEEE10hipError_tPvRmT1_T2_T3_mT4_P12ihipStream_tbEUlT_E1_NS1_11comp_targetILNS1_3genE3ELNS1_11target_archE908ELNS1_3gpuE7ELNS1_3repE0EEENS1_30default_config_static_selectorELNS0_4arch9wavefront6targetE0EEEvSI_
	.globl	_ZN7rocprim17ROCPRIM_400000_NS6detail17trampoline_kernelINS0_14default_configENS1_22reduce_config_selectorIN6thrust23THRUST_200600_302600_NS5tupleIbffNS6_9null_typeES8_S8_S8_S8_S8_S8_EEEEZNS1_11reduce_implILb1ES3_PS9_SC_S9_12reduce_tupleIifEEE10hipError_tPvRmT1_T2_T3_mT4_P12ihipStream_tbEUlT_E1_NS1_11comp_targetILNS1_3genE3ELNS1_11target_archE908ELNS1_3gpuE7ELNS1_3repE0EEENS1_30default_config_static_selectorELNS0_4arch9wavefront6targetE0EEEvSI_
	.p2align	8
	.type	_ZN7rocprim17ROCPRIM_400000_NS6detail17trampoline_kernelINS0_14default_configENS1_22reduce_config_selectorIN6thrust23THRUST_200600_302600_NS5tupleIbffNS6_9null_typeES8_S8_S8_S8_S8_S8_EEEEZNS1_11reduce_implILb1ES3_PS9_SC_S9_12reduce_tupleIifEEE10hipError_tPvRmT1_T2_T3_mT4_P12ihipStream_tbEUlT_E1_NS1_11comp_targetILNS1_3genE3ELNS1_11target_archE908ELNS1_3gpuE7ELNS1_3repE0EEENS1_30default_config_static_selectorELNS0_4arch9wavefront6targetE0EEEvSI_,@function
_ZN7rocprim17ROCPRIM_400000_NS6detail17trampoline_kernelINS0_14default_configENS1_22reduce_config_selectorIN6thrust23THRUST_200600_302600_NS5tupleIbffNS6_9null_typeES8_S8_S8_S8_S8_S8_EEEEZNS1_11reduce_implILb1ES3_PS9_SC_S9_12reduce_tupleIifEEE10hipError_tPvRmT1_T2_T3_mT4_P12ihipStream_tbEUlT_E1_NS1_11comp_targetILNS1_3genE3ELNS1_11target_archE908ELNS1_3gpuE7ELNS1_3repE0EEENS1_30default_config_static_selectorELNS0_4arch9wavefront6targetE0EEEvSI_: ; @_ZN7rocprim17ROCPRIM_400000_NS6detail17trampoline_kernelINS0_14default_configENS1_22reduce_config_selectorIN6thrust23THRUST_200600_302600_NS5tupleIbffNS6_9null_typeES8_S8_S8_S8_S8_S8_EEEEZNS1_11reduce_implILb1ES3_PS9_SC_S9_12reduce_tupleIifEEE10hipError_tPvRmT1_T2_T3_mT4_P12ihipStream_tbEUlT_E1_NS1_11comp_targetILNS1_3genE3ELNS1_11target_archE908ELNS1_3gpuE7ELNS1_3repE0EEENS1_30default_config_static_selectorELNS0_4arch9wavefront6targetE0EEEvSI_
; %bb.0:
	.section	.rodata,"a",@progbits
	.p2align	6, 0x0
	.amdhsa_kernel _ZN7rocprim17ROCPRIM_400000_NS6detail17trampoline_kernelINS0_14default_configENS1_22reduce_config_selectorIN6thrust23THRUST_200600_302600_NS5tupleIbffNS6_9null_typeES8_S8_S8_S8_S8_S8_EEEEZNS1_11reduce_implILb1ES3_PS9_SC_S9_12reduce_tupleIifEEE10hipError_tPvRmT1_T2_T3_mT4_P12ihipStream_tbEUlT_E1_NS1_11comp_targetILNS1_3genE3ELNS1_11target_archE908ELNS1_3gpuE7ELNS1_3repE0EEENS1_30default_config_static_selectorELNS0_4arch9wavefront6targetE0EEEvSI_
		.amdhsa_group_segment_fixed_size 0
		.amdhsa_private_segment_fixed_size 0
		.amdhsa_kernarg_size 48
		.amdhsa_user_sgpr_count 15
		.amdhsa_user_sgpr_dispatch_ptr 0
		.amdhsa_user_sgpr_queue_ptr 0
		.amdhsa_user_sgpr_kernarg_segment_ptr 1
		.amdhsa_user_sgpr_dispatch_id 0
		.amdhsa_user_sgpr_private_segment_size 0
		.amdhsa_wavefront_size32 1
		.amdhsa_uses_dynamic_stack 0
		.amdhsa_enable_private_segment 0
		.amdhsa_system_sgpr_workgroup_id_x 1
		.amdhsa_system_sgpr_workgroup_id_y 0
		.amdhsa_system_sgpr_workgroup_id_z 0
		.amdhsa_system_sgpr_workgroup_info 0
		.amdhsa_system_vgpr_workitem_id 0
		.amdhsa_next_free_vgpr 1
		.amdhsa_next_free_sgpr 1
		.amdhsa_reserve_vcc 0
		.amdhsa_float_round_mode_32 0
		.amdhsa_float_round_mode_16_64 0
		.amdhsa_float_denorm_mode_32 3
		.amdhsa_float_denorm_mode_16_64 3
		.amdhsa_dx10_clamp 1
		.amdhsa_ieee_mode 1
		.amdhsa_fp16_overflow 0
		.amdhsa_workgroup_processor_mode 1
		.amdhsa_memory_ordered 1
		.amdhsa_forward_progress 0
		.amdhsa_shared_vgpr_count 0
		.amdhsa_exception_fp_ieee_invalid_op 0
		.amdhsa_exception_fp_denorm_src 0
		.amdhsa_exception_fp_ieee_div_zero 0
		.amdhsa_exception_fp_ieee_overflow 0
		.amdhsa_exception_fp_ieee_underflow 0
		.amdhsa_exception_fp_ieee_inexact 0
		.amdhsa_exception_int_div_zero 0
	.end_amdhsa_kernel
	.section	.text._ZN7rocprim17ROCPRIM_400000_NS6detail17trampoline_kernelINS0_14default_configENS1_22reduce_config_selectorIN6thrust23THRUST_200600_302600_NS5tupleIbffNS6_9null_typeES8_S8_S8_S8_S8_S8_EEEEZNS1_11reduce_implILb1ES3_PS9_SC_S9_12reduce_tupleIifEEE10hipError_tPvRmT1_T2_T3_mT4_P12ihipStream_tbEUlT_E1_NS1_11comp_targetILNS1_3genE3ELNS1_11target_archE908ELNS1_3gpuE7ELNS1_3repE0EEENS1_30default_config_static_selectorELNS0_4arch9wavefront6targetE0EEEvSI_,"axG",@progbits,_ZN7rocprim17ROCPRIM_400000_NS6detail17trampoline_kernelINS0_14default_configENS1_22reduce_config_selectorIN6thrust23THRUST_200600_302600_NS5tupleIbffNS6_9null_typeES8_S8_S8_S8_S8_S8_EEEEZNS1_11reduce_implILb1ES3_PS9_SC_S9_12reduce_tupleIifEEE10hipError_tPvRmT1_T2_T3_mT4_P12ihipStream_tbEUlT_E1_NS1_11comp_targetILNS1_3genE3ELNS1_11target_archE908ELNS1_3gpuE7ELNS1_3repE0EEENS1_30default_config_static_selectorELNS0_4arch9wavefront6targetE0EEEvSI_,comdat
.Lfunc_end13:
	.size	_ZN7rocprim17ROCPRIM_400000_NS6detail17trampoline_kernelINS0_14default_configENS1_22reduce_config_selectorIN6thrust23THRUST_200600_302600_NS5tupleIbffNS6_9null_typeES8_S8_S8_S8_S8_S8_EEEEZNS1_11reduce_implILb1ES3_PS9_SC_S9_12reduce_tupleIifEEE10hipError_tPvRmT1_T2_T3_mT4_P12ihipStream_tbEUlT_E1_NS1_11comp_targetILNS1_3genE3ELNS1_11target_archE908ELNS1_3gpuE7ELNS1_3repE0EEENS1_30default_config_static_selectorELNS0_4arch9wavefront6targetE0EEEvSI_, .Lfunc_end13-_ZN7rocprim17ROCPRIM_400000_NS6detail17trampoline_kernelINS0_14default_configENS1_22reduce_config_selectorIN6thrust23THRUST_200600_302600_NS5tupleIbffNS6_9null_typeES8_S8_S8_S8_S8_S8_EEEEZNS1_11reduce_implILb1ES3_PS9_SC_S9_12reduce_tupleIifEEE10hipError_tPvRmT1_T2_T3_mT4_P12ihipStream_tbEUlT_E1_NS1_11comp_targetILNS1_3genE3ELNS1_11target_archE908ELNS1_3gpuE7ELNS1_3repE0EEENS1_30default_config_static_selectorELNS0_4arch9wavefront6targetE0EEEvSI_
                                        ; -- End function
	.section	.AMDGPU.csdata,"",@progbits
; Kernel info:
; codeLenInByte = 0
; NumSgprs: 0
; NumVgprs: 0
; ScratchSize: 0
; MemoryBound: 0
; FloatMode: 240
; IeeeMode: 1
; LDSByteSize: 0 bytes/workgroup (compile time only)
; SGPRBlocks: 0
; VGPRBlocks: 0
; NumSGPRsForWavesPerEU: 1
; NumVGPRsForWavesPerEU: 1
; Occupancy: 16
; WaveLimiterHint : 0
; COMPUTE_PGM_RSRC2:SCRATCH_EN: 0
; COMPUTE_PGM_RSRC2:USER_SGPR: 15
; COMPUTE_PGM_RSRC2:TRAP_HANDLER: 0
; COMPUTE_PGM_RSRC2:TGID_X_EN: 1
; COMPUTE_PGM_RSRC2:TGID_Y_EN: 0
; COMPUTE_PGM_RSRC2:TGID_Z_EN: 0
; COMPUTE_PGM_RSRC2:TIDIG_COMP_CNT: 0
	.section	.text._ZN7rocprim17ROCPRIM_400000_NS6detail17trampoline_kernelINS0_14default_configENS1_22reduce_config_selectorIN6thrust23THRUST_200600_302600_NS5tupleIbffNS6_9null_typeES8_S8_S8_S8_S8_S8_EEEEZNS1_11reduce_implILb1ES3_PS9_SC_S9_12reduce_tupleIifEEE10hipError_tPvRmT1_T2_T3_mT4_P12ihipStream_tbEUlT_E1_NS1_11comp_targetILNS1_3genE2ELNS1_11target_archE906ELNS1_3gpuE6ELNS1_3repE0EEENS1_30default_config_static_selectorELNS0_4arch9wavefront6targetE0EEEvSI_,"axG",@progbits,_ZN7rocprim17ROCPRIM_400000_NS6detail17trampoline_kernelINS0_14default_configENS1_22reduce_config_selectorIN6thrust23THRUST_200600_302600_NS5tupleIbffNS6_9null_typeES8_S8_S8_S8_S8_S8_EEEEZNS1_11reduce_implILb1ES3_PS9_SC_S9_12reduce_tupleIifEEE10hipError_tPvRmT1_T2_T3_mT4_P12ihipStream_tbEUlT_E1_NS1_11comp_targetILNS1_3genE2ELNS1_11target_archE906ELNS1_3gpuE6ELNS1_3repE0EEENS1_30default_config_static_selectorELNS0_4arch9wavefront6targetE0EEEvSI_,comdat
	.protected	_ZN7rocprim17ROCPRIM_400000_NS6detail17trampoline_kernelINS0_14default_configENS1_22reduce_config_selectorIN6thrust23THRUST_200600_302600_NS5tupleIbffNS6_9null_typeES8_S8_S8_S8_S8_S8_EEEEZNS1_11reduce_implILb1ES3_PS9_SC_S9_12reduce_tupleIifEEE10hipError_tPvRmT1_T2_T3_mT4_P12ihipStream_tbEUlT_E1_NS1_11comp_targetILNS1_3genE2ELNS1_11target_archE906ELNS1_3gpuE6ELNS1_3repE0EEENS1_30default_config_static_selectorELNS0_4arch9wavefront6targetE0EEEvSI_ ; -- Begin function _ZN7rocprim17ROCPRIM_400000_NS6detail17trampoline_kernelINS0_14default_configENS1_22reduce_config_selectorIN6thrust23THRUST_200600_302600_NS5tupleIbffNS6_9null_typeES8_S8_S8_S8_S8_S8_EEEEZNS1_11reduce_implILb1ES3_PS9_SC_S9_12reduce_tupleIifEEE10hipError_tPvRmT1_T2_T3_mT4_P12ihipStream_tbEUlT_E1_NS1_11comp_targetILNS1_3genE2ELNS1_11target_archE906ELNS1_3gpuE6ELNS1_3repE0EEENS1_30default_config_static_selectorELNS0_4arch9wavefront6targetE0EEEvSI_
	.globl	_ZN7rocprim17ROCPRIM_400000_NS6detail17trampoline_kernelINS0_14default_configENS1_22reduce_config_selectorIN6thrust23THRUST_200600_302600_NS5tupleIbffNS6_9null_typeES8_S8_S8_S8_S8_S8_EEEEZNS1_11reduce_implILb1ES3_PS9_SC_S9_12reduce_tupleIifEEE10hipError_tPvRmT1_T2_T3_mT4_P12ihipStream_tbEUlT_E1_NS1_11comp_targetILNS1_3genE2ELNS1_11target_archE906ELNS1_3gpuE6ELNS1_3repE0EEENS1_30default_config_static_selectorELNS0_4arch9wavefront6targetE0EEEvSI_
	.p2align	8
	.type	_ZN7rocprim17ROCPRIM_400000_NS6detail17trampoline_kernelINS0_14default_configENS1_22reduce_config_selectorIN6thrust23THRUST_200600_302600_NS5tupleIbffNS6_9null_typeES8_S8_S8_S8_S8_S8_EEEEZNS1_11reduce_implILb1ES3_PS9_SC_S9_12reduce_tupleIifEEE10hipError_tPvRmT1_T2_T3_mT4_P12ihipStream_tbEUlT_E1_NS1_11comp_targetILNS1_3genE2ELNS1_11target_archE906ELNS1_3gpuE6ELNS1_3repE0EEENS1_30default_config_static_selectorELNS0_4arch9wavefront6targetE0EEEvSI_,@function
_ZN7rocprim17ROCPRIM_400000_NS6detail17trampoline_kernelINS0_14default_configENS1_22reduce_config_selectorIN6thrust23THRUST_200600_302600_NS5tupleIbffNS6_9null_typeES8_S8_S8_S8_S8_S8_EEEEZNS1_11reduce_implILb1ES3_PS9_SC_S9_12reduce_tupleIifEEE10hipError_tPvRmT1_T2_T3_mT4_P12ihipStream_tbEUlT_E1_NS1_11comp_targetILNS1_3genE2ELNS1_11target_archE906ELNS1_3gpuE6ELNS1_3repE0EEENS1_30default_config_static_selectorELNS0_4arch9wavefront6targetE0EEEvSI_: ; @_ZN7rocprim17ROCPRIM_400000_NS6detail17trampoline_kernelINS0_14default_configENS1_22reduce_config_selectorIN6thrust23THRUST_200600_302600_NS5tupleIbffNS6_9null_typeES8_S8_S8_S8_S8_S8_EEEEZNS1_11reduce_implILb1ES3_PS9_SC_S9_12reduce_tupleIifEEE10hipError_tPvRmT1_T2_T3_mT4_P12ihipStream_tbEUlT_E1_NS1_11comp_targetILNS1_3genE2ELNS1_11target_archE906ELNS1_3gpuE6ELNS1_3repE0EEENS1_30default_config_static_selectorELNS0_4arch9wavefront6targetE0EEEvSI_
; %bb.0:
	.section	.rodata,"a",@progbits
	.p2align	6, 0x0
	.amdhsa_kernel _ZN7rocprim17ROCPRIM_400000_NS6detail17trampoline_kernelINS0_14default_configENS1_22reduce_config_selectorIN6thrust23THRUST_200600_302600_NS5tupleIbffNS6_9null_typeES8_S8_S8_S8_S8_S8_EEEEZNS1_11reduce_implILb1ES3_PS9_SC_S9_12reduce_tupleIifEEE10hipError_tPvRmT1_T2_T3_mT4_P12ihipStream_tbEUlT_E1_NS1_11comp_targetILNS1_3genE2ELNS1_11target_archE906ELNS1_3gpuE6ELNS1_3repE0EEENS1_30default_config_static_selectorELNS0_4arch9wavefront6targetE0EEEvSI_
		.amdhsa_group_segment_fixed_size 0
		.amdhsa_private_segment_fixed_size 0
		.amdhsa_kernarg_size 48
		.amdhsa_user_sgpr_count 15
		.amdhsa_user_sgpr_dispatch_ptr 0
		.amdhsa_user_sgpr_queue_ptr 0
		.amdhsa_user_sgpr_kernarg_segment_ptr 1
		.amdhsa_user_sgpr_dispatch_id 0
		.amdhsa_user_sgpr_private_segment_size 0
		.amdhsa_wavefront_size32 1
		.amdhsa_uses_dynamic_stack 0
		.amdhsa_enable_private_segment 0
		.amdhsa_system_sgpr_workgroup_id_x 1
		.amdhsa_system_sgpr_workgroup_id_y 0
		.amdhsa_system_sgpr_workgroup_id_z 0
		.amdhsa_system_sgpr_workgroup_info 0
		.amdhsa_system_vgpr_workitem_id 0
		.amdhsa_next_free_vgpr 1
		.amdhsa_next_free_sgpr 1
		.amdhsa_reserve_vcc 0
		.amdhsa_float_round_mode_32 0
		.amdhsa_float_round_mode_16_64 0
		.amdhsa_float_denorm_mode_32 3
		.amdhsa_float_denorm_mode_16_64 3
		.amdhsa_dx10_clamp 1
		.amdhsa_ieee_mode 1
		.amdhsa_fp16_overflow 0
		.amdhsa_workgroup_processor_mode 1
		.amdhsa_memory_ordered 1
		.amdhsa_forward_progress 0
		.amdhsa_shared_vgpr_count 0
		.amdhsa_exception_fp_ieee_invalid_op 0
		.amdhsa_exception_fp_denorm_src 0
		.amdhsa_exception_fp_ieee_div_zero 0
		.amdhsa_exception_fp_ieee_overflow 0
		.amdhsa_exception_fp_ieee_underflow 0
		.amdhsa_exception_fp_ieee_inexact 0
		.amdhsa_exception_int_div_zero 0
	.end_amdhsa_kernel
	.section	.text._ZN7rocprim17ROCPRIM_400000_NS6detail17trampoline_kernelINS0_14default_configENS1_22reduce_config_selectorIN6thrust23THRUST_200600_302600_NS5tupleIbffNS6_9null_typeES8_S8_S8_S8_S8_S8_EEEEZNS1_11reduce_implILb1ES3_PS9_SC_S9_12reduce_tupleIifEEE10hipError_tPvRmT1_T2_T3_mT4_P12ihipStream_tbEUlT_E1_NS1_11comp_targetILNS1_3genE2ELNS1_11target_archE906ELNS1_3gpuE6ELNS1_3repE0EEENS1_30default_config_static_selectorELNS0_4arch9wavefront6targetE0EEEvSI_,"axG",@progbits,_ZN7rocprim17ROCPRIM_400000_NS6detail17trampoline_kernelINS0_14default_configENS1_22reduce_config_selectorIN6thrust23THRUST_200600_302600_NS5tupleIbffNS6_9null_typeES8_S8_S8_S8_S8_S8_EEEEZNS1_11reduce_implILb1ES3_PS9_SC_S9_12reduce_tupleIifEEE10hipError_tPvRmT1_T2_T3_mT4_P12ihipStream_tbEUlT_E1_NS1_11comp_targetILNS1_3genE2ELNS1_11target_archE906ELNS1_3gpuE6ELNS1_3repE0EEENS1_30default_config_static_selectorELNS0_4arch9wavefront6targetE0EEEvSI_,comdat
.Lfunc_end14:
	.size	_ZN7rocprim17ROCPRIM_400000_NS6detail17trampoline_kernelINS0_14default_configENS1_22reduce_config_selectorIN6thrust23THRUST_200600_302600_NS5tupleIbffNS6_9null_typeES8_S8_S8_S8_S8_S8_EEEEZNS1_11reduce_implILb1ES3_PS9_SC_S9_12reduce_tupleIifEEE10hipError_tPvRmT1_T2_T3_mT4_P12ihipStream_tbEUlT_E1_NS1_11comp_targetILNS1_3genE2ELNS1_11target_archE906ELNS1_3gpuE6ELNS1_3repE0EEENS1_30default_config_static_selectorELNS0_4arch9wavefront6targetE0EEEvSI_, .Lfunc_end14-_ZN7rocprim17ROCPRIM_400000_NS6detail17trampoline_kernelINS0_14default_configENS1_22reduce_config_selectorIN6thrust23THRUST_200600_302600_NS5tupleIbffNS6_9null_typeES8_S8_S8_S8_S8_S8_EEEEZNS1_11reduce_implILb1ES3_PS9_SC_S9_12reduce_tupleIifEEE10hipError_tPvRmT1_T2_T3_mT4_P12ihipStream_tbEUlT_E1_NS1_11comp_targetILNS1_3genE2ELNS1_11target_archE906ELNS1_3gpuE6ELNS1_3repE0EEENS1_30default_config_static_selectorELNS0_4arch9wavefront6targetE0EEEvSI_
                                        ; -- End function
	.section	.AMDGPU.csdata,"",@progbits
; Kernel info:
; codeLenInByte = 0
; NumSgprs: 0
; NumVgprs: 0
; ScratchSize: 0
; MemoryBound: 0
; FloatMode: 240
; IeeeMode: 1
; LDSByteSize: 0 bytes/workgroup (compile time only)
; SGPRBlocks: 0
; VGPRBlocks: 0
; NumSGPRsForWavesPerEU: 1
; NumVGPRsForWavesPerEU: 1
; Occupancy: 16
; WaveLimiterHint : 0
; COMPUTE_PGM_RSRC2:SCRATCH_EN: 0
; COMPUTE_PGM_RSRC2:USER_SGPR: 15
; COMPUTE_PGM_RSRC2:TRAP_HANDLER: 0
; COMPUTE_PGM_RSRC2:TGID_X_EN: 1
; COMPUTE_PGM_RSRC2:TGID_Y_EN: 0
; COMPUTE_PGM_RSRC2:TGID_Z_EN: 0
; COMPUTE_PGM_RSRC2:TIDIG_COMP_CNT: 0
	.section	.text._ZN7rocprim17ROCPRIM_400000_NS6detail17trampoline_kernelINS0_14default_configENS1_22reduce_config_selectorIN6thrust23THRUST_200600_302600_NS5tupleIbffNS6_9null_typeES8_S8_S8_S8_S8_S8_EEEEZNS1_11reduce_implILb1ES3_PS9_SC_S9_12reduce_tupleIifEEE10hipError_tPvRmT1_T2_T3_mT4_P12ihipStream_tbEUlT_E1_NS1_11comp_targetILNS1_3genE10ELNS1_11target_archE1201ELNS1_3gpuE5ELNS1_3repE0EEENS1_30default_config_static_selectorELNS0_4arch9wavefront6targetE0EEEvSI_,"axG",@progbits,_ZN7rocprim17ROCPRIM_400000_NS6detail17trampoline_kernelINS0_14default_configENS1_22reduce_config_selectorIN6thrust23THRUST_200600_302600_NS5tupleIbffNS6_9null_typeES8_S8_S8_S8_S8_S8_EEEEZNS1_11reduce_implILb1ES3_PS9_SC_S9_12reduce_tupleIifEEE10hipError_tPvRmT1_T2_T3_mT4_P12ihipStream_tbEUlT_E1_NS1_11comp_targetILNS1_3genE10ELNS1_11target_archE1201ELNS1_3gpuE5ELNS1_3repE0EEENS1_30default_config_static_selectorELNS0_4arch9wavefront6targetE0EEEvSI_,comdat
	.protected	_ZN7rocprim17ROCPRIM_400000_NS6detail17trampoline_kernelINS0_14default_configENS1_22reduce_config_selectorIN6thrust23THRUST_200600_302600_NS5tupleIbffNS6_9null_typeES8_S8_S8_S8_S8_S8_EEEEZNS1_11reduce_implILb1ES3_PS9_SC_S9_12reduce_tupleIifEEE10hipError_tPvRmT1_T2_T3_mT4_P12ihipStream_tbEUlT_E1_NS1_11comp_targetILNS1_3genE10ELNS1_11target_archE1201ELNS1_3gpuE5ELNS1_3repE0EEENS1_30default_config_static_selectorELNS0_4arch9wavefront6targetE0EEEvSI_ ; -- Begin function _ZN7rocprim17ROCPRIM_400000_NS6detail17trampoline_kernelINS0_14default_configENS1_22reduce_config_selectorIN6thrust23THRUST_200600_302600_NS5tupleIbffNS6_9null_typeES8_S8_S8_S8_S8_S8_EEEEZNS1_11reduce_implILb1ES3_PS9_SC_S9_12reduce_tupleIifEEE10hipError_tPvRmT1_T2_T3_mT4_P12ihipStream_tbEUlT_E1_NS1_11comp_targetILNS1_3genE10ELNS1_11target_archE1201ELNS1_3gpuE5ELNS1_3repE0EEENS1_30default_config_static_selectorELNS0_4arch9wavefront6targetE0EEEvSI_
	.globl	_ZN7rocprim17ROCPRIM_400000_NS6detail17trampoline_kernelINS0_14default_configENS1_22reduce_config_selectorIN6thrust23THRUST_200600_302600_NS5tupleIbffNS6_9null_typeES8_S8_S8_S8_S8_S8_EEEEZNS1_11reduce_implILb1ES3_PS9_SC_S9_12reduce_tupleIifEEE10hipError_tPvRmT1_T2_T3_mT4_P12ihipStream_tbEUlT_E1_NS1_11comp_targetILNS1_3genE10ELNS1_11target_archE1201ELNS1_3gpuE5ELNS1_3repE0EEENS1_30default_config_static_selectorELNS0_4arch9wavefront6targetE0EEEvSI_
	.p2align	8
	.type	_ZN7rocprim17ROCPRIM_400000_NS6detail17trampoline_kernelINS0_14default_configENS1_22reduce_config_selectorIN6thrust23THRUST_200600_302600_NS5tupleIbffNS6_9null_typeES8_S8_S8_S8_S8_S8_EEEEZNS1_11reduce_implILb1ES3_PS9_SC_S9_12reduce_tupleIifEEE10hipError_tPvRmT1_T2_T3_mT4_P12ihipStream_tbEUlT_E1_NS1_11comp_targetILNS1_3genE10ELNS1_11target_archE1201ELNS1_3gpuE5ELNS1_3repE0EEENS1_30default_config_static_selectorELNS0_4arch9wavefront6targetE0EEEvSI_,@function
_ZN7rocprim17ROCPRIM_400000_NS6detail17trampoline_kernelINS0_14default_configENS1_22reduce_config_selectorIN6thrust23THRUST_200600_302600_NS5tupleIbffNS6_9null_typeES8_S8_S8_S8_S8_S8_EEEEZNS1_11reduce_implILb1ES3_PS9_SC_S9_12reduce_tupleIifEEE10hipError_tPvRmT1_T2_T3_mT4_P12ihipStream_tbEUlT_E1_NS1_11comp_targetILNS1_3genE10ELNS1_11target_archE1201ELNS1_3gpuE5ELNS1_3repE0EEENS1_30default_config_static_selectorELNS0_4arch9wavefront6targetE0EEEvSI_: ; @_ZN7rocprim17ROCPRIM_400000_NS6detail17trampoline_kernelINS0_14default_configENS1_22reduce_config_selectorIN6thrust23THRUST_200600_302600_NS5tupleIbffNS6_9null_typeES8_S8_S8_S8_S8_S8_EEEEZNS1_11reduce_implILb1ES3_PS9_SC_S9_12reduce_tupleIifEEE10hipError_tPvRmT1_T2_T3_mT4_P12ihipStream_tbEUlT_E1_NS1_11comp_targetILNS1_3genE10ELNS1_11target_archE1201ELNS1_3gpuE5ELNS1_3repE0EEENS1_30default_config_static_selectorELNS0_4arch9wavefront6targetE0EEEvSI_
; %bb.0:
	.section	.rodata,"a",@progbits
	.p2align	6, 0x0
	.amdhsa_kernel _ZN7rocprim17ROCPRIM_400000_NS6detail17trampoline_kernelINS0_14default_configENS1_22reduce_config_selectorIN6thrust23THRUST_200600_302600_NS5tupleIbffNS6_9null_typeES8_S8_S8_S8_S8_S8_EEEEZNS1_11reduce_implILb1ES3_PS9_SC_S9_12reduce_tupleIifEEE10hipError_tPvRmT1_T2_T3_mT4_P12ihipStream_tbEUlT_E1_NS1_11comp_targetILNS1_3genE10ELNS1_11target_archE1201ELNS1_3gpuE5ELNS1_3repE0EEENS1_30default_config_static_selectorELNS0_4arch9wavefront6targetE0EEEvSI_
		.amdhsa_group_segment_fixed_size 0
		.amdhsa_private_segment_fixed_size 0
		.amdhsa_kernarg_size 48
		.amdhsa_user_sgpr_count 15
		.amdhsa_user_sgpr_dispatch_ptr 0
		.amdhsa_user_sgpr_queue_ptr 0
		.amdhsa_user_sgpr_kernarg_segment_ptr 1
		.amdhsa_user_sgpr_dispatch_id 0
		.amdhsa_user_sgpr_private_segment_size 0
		.amdhsa_wavefront_size32 1
		.amdhsa_uses_dynamic_stack 0
		.amdhsa_enable_private_segment 0
		.amdhsa_system_sgpr_workgroup_id_x 1
		.amdhsa_system_sgpr_workgroup_id_y 0
		.amdhsa_system_sgpr_workgroup_id_z 0
		.amdhsa_system_sgpr_workgroup_info 0
		.amdhsa_system_vgpr_workitem_id 0
		.amdhsa_next_free_vgpr 1
		.amdhsa_next_free_sgpr 1
		.amdhsa_reserve_vcc 0
		.amdhsa_float_round_mode_32 0
		.amdhsa_float_round_mode_16_64 0
		.amdhsa_float_denorm_mode_32 3
		.amdhsa_float_denorm_mode_16_64 3
		.amdhsa_dx10_clamp 1
		.amdhsa_ieee_mode 1
		.amdhsa_fp16_overflow 0
		.amdhsa_workgroup_processor_mode 1
		.amdhsa_memory_ordered 1
		.amdhsa_forward_progress 0
		.amdhsa_shared_vgpr_count 0
		.amdhsa_exception_fp_ieee_invalid_op 0
		.amdhsa_exception_fp_denorm_src 0
		.amdhsa_exception_fp_ieee_div_zero 0
		.amdhsa_exception_fp_ieee_overflow 0
		.amdhsa_exception_fp_ieee_underflow 0
		.amdhsa_exception_fp_ieee_inexact 0
		.amdhsa_exception_int_div_zero 0
	.end_amdhsa_kernel
	.section	.text._ZN7rocprim17ROCPRIM_400000_NS6detail17trampoline_kernelINS0_14default_configENS1_22reduce_config_selectorIN6thrust23THRUST_200600_302600_NS5tupleIbffNS6_9null_typeES8_S8_S8_S8_S8_S8_EEEEZNS1_11reduce_implILb1ES3_PS9_SC_S9_12reduce_tupleIifEEE10hipError_tPvRmT1_T2_T3_mT4_P12ihipStream_tbEUlT_E1_NS1_11comp_targetILNS1_3genE10ELNS1_11target_archE1201ELNS1_3gpuE5ELNS1_3repE0EEENS1_30default_config_static_selectorELNS0_4arch9wavefront6targetE0EEEvSI_,"axG",@progbits,_ZN7rocprim17ROCPRIM_400000_NS6detail17trampoline_kernelINS0_14default_configENS1_22reduce_config_selectorIN6thrust23THRUST_200600_302600_NS5tupleIbffNS6_9null_typeES8_S8_S8_S8_S8_S8_EEEEZNS1_11reduce_implILb1ES3_PS9_SC_S9_12reduce_tupleIifEEE10hipError_tPvRmT1_T2_T3_mT4_P12ihipStream_tbEUlT_E1_NS1_11comp_targetILNS1_3genE10ELNS1_11target_archE1201ELNS1_3gpuE5ELNS1_3repE0EEENS1_30default_config_static_selectorELNS0_4arch9wavefront6targetE0EEEvSI_,comdat
.Lfunc_end15:
	.size	_ZN7rocprim17ROCPRIM_400000_NS6detail17trampoline_kernelINS0_14default_configENS1_22reduce_config_selectorIN6thrust23THRUST_200600_302600_NS5tupleIbffNS6_9null_typeES8_S8_S8_S8_S8_S8_EEEEZNS1_11reduce_implILb1ES3_PS9_SC_S9_12reduce_tupleIifEEE10hipError_tPvRmT1_T2_T3_mT4_P12ihipStream_tbEUlT_E1_NS1_11comp_targetILNS1_3genE10ELNS1_11target_archE1201ELNS1_3gpuE5ELNS1_3repE0EEENS1_30default_config_static_selectorELNS0_4arch9wavefront6targetE0EEEvSI_, .Lfunc_end15-_ZN7rocprim17ROCPRIM_400000_NS6detail17trampoline_kernelINS0_14default_configENS1_22reduce_config_selectorIN6thrust23THRUST_200600_302600_NS5tupleIbffNS6_9null_typeES8_S8_S8_S8_S8_S8_EEEEZNS1_11reduce_implILb1ES3_PS9_SC_S9_12reduce_tupleIifEEE10hipError_tPvRmT1_T2_T3_mT4_P12ihipStream_tbEUlT_E1_NS1_11comp_targetILNS1_3genE10ELNS1_11target_archE1201ELNS1_3gpuE5ELNS1_3repE0EEENS1_30default_config_static_selectorELNS0_4arch9wavefront6targetE0EEEvSI_
                                        ; -- End function
	.section	.AMDGPU.csdata,"",@progbits
; Kernel info:
; codeLenInByte = 0
; NumSgprs: 0
; NumVgprs: 0
; ScratchSize: 0
; MemoryBound: 0
; FloatMode: 240
; IeeeMode: 1
; LDSByteSize: 0 bytes/workgroup (compile time only)
; SGPRBlocks: 0
; VGPRBlocks: 0
; NumSGPRsForWavesPerEU: 1
; NumVGPRsForWavesPerEU: 1
; Occupancy: 16
; WaveLimiterHint : 0
; COMPUTE_PGM_RSRC2:SCRATCH_EN: 0
; COMPUTE_PGM_RSRC2:USER_SGPR: 15
; COMPUTE_PGM_RSRC2:TRAP_HANDLER: 0
; COMPUTE_PGM_RSRC2:TGID_X_EN: 1
; COMPUTE_PGM_RSRC2:TGID_Y_EN: 0
; COMPUTE_PGM_RSRC2:TGID_Z_EN: 0
; COMPUTE_PGM_RSRC2:TIDIG_COMP_CNT: 0
	.section	.text._ZN7rocprim17ROCPRIM_400000_NS6detail17trampoline_kernelINS0_14default_configENS1_22reduce_config_selectorIN6thrust23THRUST_200600_302600_NS5tupleIbffNS6_9null_typeES8_S8_S8_S8_S8_S8_EEEEZNS1_11reduce_implILb1ES3_PS9_SC_S9_12reduce_tupleIifEEE10hipError_tPvRmT1_T2_T3_mT4_P12ihipStream_tbEUlT_E1_NS1_11comp_targetILNS1_3genE10ELNS1_11target_archE1200ELNS1_3gpuE4ELNS1_3repE0EEENS1_30default_config_static_selectorELNS0_4arch9wavefront6targetE0EEEvSI_,"axG",@progbits,_ZN7rocprim17ROCPRIM_400000_NS6detail17trampoline_kernelINS0_14default_configENS1_22reduce_config_selectorIN6thrust23THRUST_200600_302600_NS5tupleIbffNS6_9null_typeES8_S8_S8_S8_S8_S8_EEEEZNS1_11reduce_implILb1ES3_PS9_SC_S9_12reduce_tupleIifEEE10hipError_tPvRmT1_T2_T3_mT4_P12ihipStream_tbEUlT_E1_NS1_11comp_targetILNS1_3genE10ELNS1_11target_archE1200ELNS1_3gpuE4ELNS1_3repE0EEENS1_30default_config_static_selectorELNS0_4arch9wavefront6targetE0EEEvSI_,comdat
	.protected	_ZN7rocprim17ROCPRIM_400000_NS6detail17trampoline_kernelINS0_14default_configENS1_22reduce_config_selectorIN6thrust23THRUST_200600_302600_NS5tupleIbffNS6_9null_typeES8_S8_S8_S8_S8_S8_EEEEZNS1_11reduce_implILb1ES3_PS9_SC_S9_12reduce_tupleIifEEE10hipError_tPvRmT1_T2_T3_mT4_P12ihipStream_tbEUlT_E1_NS1_11comp_targetILNS1_3genE10ELNS1_11target_archE1200ELNS1_3gpuE4ELNS1_3repE0EEENS1_30default_config_static_selectorELNS0_4arch9wavefront6targetE0EEEvSI_ ; -- Begin function _ZN7rocprim17ROCPRIM_400000_NS6detail17trampoline_kernelINS0_14default_configENS1_22reduce_config_selectorIN6thrust23THRUST_200600_302600_NS5tupleIbffNS6_9null_typeES8_S8_S8_S8_S8_S8_EEEEZNS1_11reduce_implILb1ES3_PS9_SC_S9_12reduce_tupleIifEEE10hipError_tPvRmT1_T2_T3_mT4_P12ihipStream_tbEUlT_E1_NS1_11comp_targetILNS1_3genE10ELNS1_11target_archE1200ELNS1_3gpuE4ELNS1_3repE0EEENS1_30default_config_static_selectorELNS0_4arch9wavefront6targetE0EEEvSI_
	.globl	_ZN7rocprim17ROCPRIM_400000_NS6detail17trampoline_kernelINS0_14default_configENS1_22reduce_config_selectorIN6thrust23THRUST_200600_302600_NS5tupleIbffNS6_9null_typeES8_S8_S8_S8_S8_S8_EEEEZNS1_11reduce_implILb1ES3_PS9_SC_S9_12reduce_tupleIifEEE10hipError_tPvRmT1_T2_T3_mT4_P12ihipStream_tbEUlT_E1_NS1_11comp_targetILNS1_3genE10ELNS1_11target_archE1200ELNS1_3gpuE4ELNS1_3repE0EEENS1_30default_config_static_selectorELNS0_4arch9wavefront6targetE0EEEvSI_
	.p2align	8
	.type	_ZN7rocprim17ROCPRIM_400000_NS6detail17trampoline_kernelINS0_14default_configENS1_22reduce_config_selectorIN6thrust23THRUST_200600_302600_NS5tupleIbffNS6_9null_typeES8_S8_S8_S8_S8_S8_EEEEZNS1_11reduce_implILb1ES3_PS9_SC_S9_12reduce_tupleIifEEE10hipError_tPvRmT1_T2_T3_mT4_P12ihipStream_tbEUlT_E1_NS1_11comp_targetILNS1_3genE10ELNS1_11target_archE1200ELNS1_3gpuE4ELNS1_3repE0EEENS1_30default_config_static_selectorELNS0_4arch9wavefront6targetE0EEEvSI_,@function
_ZN7rocprim17ROCPRIM_400000_NS6detail17trampoline_kernelINS0_14default_configENS1_22reduce_config_selectorIN6thrust23THRUST_200600_302600_NS5tupleIbffNS6_9null_typeES8_S8_S8_S8_S8_S8_EEEEZNS1_11reduce_implILb1ES3_PS9_SC_S9_12reduce_tupleIifEEE10hipError_tPvRmT1_T2_T3_mT4_P12ihipStream_tbEUlT_E1_NS1_11comp_targetILNS1_3genE10ELNS1_11target_archE1200ELNS1_3gpuE4ELNS1_3repE0EEENS1_30default_config_static_selectorELNS0_4arch9wavefront6targetE0EEEvSI_: ; @_ZN7rocprim17ROCPRIM_400000_NS6detail17trampoline_kernelINS0_14default_configENS1_22reduce_config_selectorIN6thrust23THRUST_200600_302600_NS5tupleIbffNS6_9null_typeES8_S8_S8_S8_S8_S8_EEEEZNS1_11reduce_implILb1ES3_PS9_SC_S9_12reduce_tupleIifEEE10hipError_tPvRmT1_T2_T3_mT4_P12ihipStream_tbEUlT_E1_NS1_11comp_targetILNS1_3genE10ELNS1_11target_archE1200ELNS1_3gpuE4ELNS1_3repE0EEENS1_30default_config_static_selectorELNS0_4arch9wavefront6targetE0EEEvSI_
; %bb.0:
	.section	.rodata,"a",@progbits
	.p2align	6, 0x0
	.amdhsa_kernel _ZN7rocprim17ROCPRIM_400000_NS6detail17trampoline_kernelINS0_14default_configENS1_22reduce_config_selectorIN6thrust23THRUST_200600_302600_NS5tupleIbffNS6_9null_typeES8_S8_S8_S8_S8_S8_EEEEZNS1_11reduce_implILb1ES3_PS9_SC_S9_12reduce_tupleIifEEE10hipError_tPvRmT1_T2_T3_mT4_P12ihipStream_tbEUlT_E1_NS1_11comp_targetILNS1_3genE10ELNS1_11target_archE1200ELNS1_3gpuE4ELNS1_3repE0EEENS1_30default_config_static_selectorELNS0_4arch9wavefront6targetE0EEEvSI_
		.amdhsa_group_segment_fixed_size 0
		.amdhsa_private_segment_fixed_size 0
		.amdhsa_kernarg_size 48
		.amdhsa_user_sgpr_count 15
		.amdhsa_user_sgpr_dispatch_ptr 0
		.amdhsa_user_sgpr_queue_ptr 0
		.amdhsa_user_sgpr_kernarg_segment_ptr 1
		.amdhsa_user_sgpr_dispatch_id 0
		.amdhsa_user_sgpr_private_segment_size 0
		.amdhsa_wavefront_size32 1
		.amdhsa_uses_dynamic_stack 0
		.amdhsa_enable_private_segment 0
		.amdhsa_system_sgpr_workgroup_id_x 1
		.amdhsa_system_sgpr_workgroup_id_y 0
		.amdhsa_system_sgpr_workgroup_id_z 0
		.amdhsa_system_sgpr_workgroup_info 0
		.amdhsa_system_vgpr_workitem_id 0
		.amdhsa_next_free_vgpr 1
		.amdhsa_next_free_sgpr 1
		.amdhsa_reserve_vcc 0
		.amdhsa_float_round_mode_32 0
		.amdhsa_float_round_mode_16_64 0
		.amdhsa_float_denorm_mode_32 3
		.amdhsa_float_denorm_mode_16_64 3
		.amdhsa_dx10_clamp 1
		.amdhsa_ieee_mode 1
		.amdhsa_fp16_overflow 0
		.amdhsa_workgroup_processor_mode 1
		.amdhsa_memory_ordered 1
		.amdhsa_forward_progress 0
		.amdhsa_shared_vgpr_count 0
		.amdhsa_exception_fp_ieee_invalid_op 0
		.amdhsa_exception_fp_denorm_src 0
		.amdhsa_exception_fp_ieee_div_zero 0
		.amdhsa_exception_fp_ieee_overflow 0
		.amdhsa_exception_fp_ieee_underflow 0
		.amdhsa_exception_fp_ieee_inexact 0
		.amdhsa_exception_int_div_zero 0
	.end_amdhsa_kernel
	.section	.text._ZN7rocprim17ROCPRIM_400000_NS6detail17trampoline_kernelINS0_14default_configENS1_22reduce_config_selectorIN6thrust23THRUST_200600_302600_NS5tupleIbffNS6_9null_typeES8_S8_S8_S8_S8_S8_EEEEZNS1_11reduce_implILb1ES3_PS9_SC_S9_12reduce_tupleIifEEE10hipError_tPvRmT1_T2_T3_mT4_P12ihipStream_tbEUlT_E1_NS1_11comp_targetILNS1_3genE10ELNS1_11target_archE1200ELNS1_3gpuE4ELNS1_3repE0EEENS1_30default_config_static_selectorELNS0_4arch9wavefront6targetE0EEEvSI_,"axG",@progbits,_ZN7rocprim17ROCPRIM_400000_NS6detail17trampoline_kernelINS0_14default_configENS1_22reduce_config_selectorIN6thrust23THRUST_200600_302600_NS5tupleIbffNS6_9null_typeES8_S8_S8_S8_S8_S8_EEEEZNS1_11reduce_implILb1ES3_PS9_SC_S9_12reduce_tupleIifEEE10hipError_tPvRmT1_T2_T3_mT4_P12ihipStream_tbEUlT_E1_NS1_11comp_targetILNS1_3genE10ELNS1_11target_archE1200ELNS1_3gpuE4ELNS1_3repE0EEENS1_30default_config_static_selectorELNS0_4arch9wavefront6targetE0EEEvSI_,comdat
.Lfunc_end16:
	.size	_ZN7rocprim17ROCPRIM_400000_NS6detail17trampoline_kernelINS0_14default_configENS1_22reduce_config_selectorIN6thrust23THRUST_200600_302600_NS5tupleIbffNS6_9null_typeES8_S8_S8_S8_S8_S8_EEEEZNS1_11reduce_implILb1ES3_PS9_SC_S9_12reduce_tupleIifEEE10hipError_tPvRmT1_T2_T3_mT4_P12ihipStream_tbEUlT_E1_NS1_11comp_targetILNS1_3genE10ELNS1_11target_archE1200ELNS1_3gpuE4ELNS1_3repE0EEENS1_30default_config_static_selectorELNS0_4arch9wavefront6targetE0EEEvSI_, .Lfunc_end16-_ZN7rocprim17ROCPRIM_400000_NS6detail17trampoline_kernelINS0_14default_configENS1_22reduce_config_selectorIN6thrust23THRUST_200600_302600_NS5tupleIbffNS6_9null_typeES8_S8_S8_S8_S8_S8_EEEEZNS1_11reduce_implILb1ES3_PS9_SC_S9_12reduce_tupleIifEEE10hipError_tPvRmT1_T2_T3_mT4_P12ihipStream_tbEUlT_E1_NS1_11comp_targetILNS1_3genE10ELNS1_11target_archE1200ELNS1_3gpuE4ELNS1_3repE0EEENS1_30default_config_static_selectorELNS0_4arch9wavefront6targetE0EEEvSI_
                                        ; -- End function
	.section	.AMDGPU.csdata,"",@progbits
; Kernel info:
; codeLenInByte = 0
; NumSgprs: 0
; NumVgprs: 0
; ScratchSize: 0
; MemoryBound: 0
; FloatMode: 240
; IeeeMode: 1
; LDSByteSize: 0 bytes/workgroup (compile time only)
; SGPRBlocks: 0
; VGPRBlocks: 0
; NumSGPRsForWavesPerEU: 1
; NumVGPRsForWavesPerEU: 1
; Occupancy: 16
; WaveLimiterHint : 0
; COMPUTE_PGM_RSRC2:SCRATCH_EN: 0
; COMPUTE_PGM_RSRC2:USER_SGPR: 15
; COMPUTE_PGM_RSRC2:TRAP_HANDLER: 0
; COMPUTE_PGM_RSRC2:TGID_X_EN: 1
; COMPUTE_PGM_RSRC2:TGID_Y_EN: 0
; COMPUTE_PGM_RSRC2:TGID_Z_EN: 0
; COMPUTE_PGM_RSRC2:TIDIG_COMP_CNT: 0
	.section	.text._ZN7rocprim17ROCPRIM_400000_NS6detail17trampoline_kernelINS0_14default_configENS1_22reduce_config_selectorIN6thrust23THRUST_200600_302600_NS5tupleIbffNS6_9null_typeES8_S8_S8_S8_S8_S8_EEEEZNS1_11reduce_implILb1ES3_PS9_SC_S9_12reduce_tupleIifEEE10hipError_tPvRmT1_T2_T3_mT4_P12ihipStream_tbEUlT_E1_NS1_11comp_targetILNS1_3genE9ELNS1_11target_archE1100ELNS1_3gpuE3ELNS1_3repE0EEENS1_30default_config_static_selectorELNS0_4arch9wavefront6targetE0EEEvSI_,"axG",@progbits,_ZN7rocprim17ROCPRIM_400000_NS6detail17trampoline_kernelINS0_14default_configENS1_22reduce_config_selectorIN6thrust23THRUST_200600_302600_NS5tupleIbffNS6_9null_typeES8_S8_S8_S8_S8_S8_EEEEZNS1_11reduce_implILb1ES3_PS9_SC_S9_12reduce_tupleIifEEE10hipError_tPvRmT1_T2_T3_mT4_P12ihipStream_tbEUlT_E1_NS1_11comp_targetILNS1_3genE9ELNS1_11target_archE1100ELNS1_3gpuE3ELNS1_3repE0EEENS1_30default_config_static_selectorELNS0_4arch9wavefront6targetE0EEEvSI_,comdat
	.protected	_ZN7rocprim17ROCPRIM_400000_NS6detail17trampoline_kernelINS0_14default_configENS1_22reduce_config_selectorIN6thrust23THRUST_200600_302600_NS5tupleIbffNS6_9null_typeES8_S8_S8_S8_S8_S8_EEEEZNS1_11reduce_implILb1ES3_PS9_SC_S9_12reduce_tupleIifEEE10hipError_tPvRmT1_T2_T3_mT4_P12ihipStream_tbEUlT_E1_NS1_11comp_targetILNS1_3genE9ELNS1_11target_archE1100ELNS1_3gpuE3ELNS1_3repE0EEENS1_30default_config_static_selectorELNS0_4arch9wavefront6targetE0EEEvSI_ ; -- Begin function _ZN7rocprim17ROCPRIM_400000_NS6detail17trampoline_kernelINS0_14default_configENS1_22reduce_config_selectorIN6thrust23THRUST_200600_302600_NS5tupleIbffNS6_9null_typeES8_S8_S8_S8_S8_S8_EEEEZNS1_11reduce_implILb1ES3_PS9_SC_S9_12reduce_tupleIifEEE10hipError_tPvRmT1_T2_T3_mT4_P12ihipStream_tbEUlT_E1_NS1_11comp_targetILNS1_3genE9ELNS1_11target_archE1100ELNS1_3gpuE3ELNS1_3repE0EEENS1_30default_config_static_selectorELNS0_4arch9wavefront6targetE0EEEvSI_
	.globl	_ZN7rocprim17ROCPRIM_400000_NS6detail17trampoline_kernelINS0_14default_configENS1_22reduce_config_selectorIN6thrust23THRUST_200600_302600_NS5tupleIbffNS6_9null_typeES8_S8_S8_S8_S8_S8_EEEEZNS1_11reduce_implILb1ES3_PS9_SC_S9_12reduce_tupleIifEEE10hipError_tPvRmT1_T2_T3_mT4_P12ihipStream_tbEUlT_E1_NS1_11comp_targetILNS1_3genE9ELNS1_11target_archE1100ELNS1_3gpuE3ELNS1_3repE0EEENS1_30default_config_static_selectorELNS0_4arch9wavefront6targetE0EEEvSI_
	.p2align	8
	.type	_ZN7rocprim17ROCPRIM_400000_NS6detail17trampoline_kernelINS0_14default_configENS1_22reduce_config_selectorIN6thrust23THRUST_200600_302600_NS5tupleIbffNS6_9null_typeES8_S8_S8_S8_S8_S8_EEEEZNS1_11reduce_implILb1ES3_PS9_SC_S9_12reduce_tupleIifEEE10hipError_tPvRmT1_T2_T3_mT4_P12ihipStream_tbEUlT_E1_NS1_11comp_targetILNS1_3genE9ELNS1_11target_archE1100ELNS1_3gpuE3ELNS1_3repE0EEENS1_30default_config_static_selectorELNS0_4arch9wavefront6targetE0EEEvSI_,@function
_ZN7rocprim17ROCPRIM_400000_NS6detail17trampoline_kernelINS0_14default_configENS1_22reduce_config_selectorIN6thrust23THRUST_200600_302600_NS5tupleIbffNS6_9null_typeES8_S8_S8_S8_S8_S8_EEEEZNS1_11reduce_implILb1ES3_PS9_SC_S9_12reduce_tupleIifEEE10hipError_tPvRmT1_T2_T3_mT4_P12ihipStream_tbEUlT_E1_NS1_11comp_targetILNS1_3genE9ELNS1_11target_archE1100ELNS1_3gpuE3ELNS1_3repE0EEENS1_30default_config_static_selectorELNS0_4arch9wavefront6targetE0EEEvSI_: ; @_ZN7rocprim17ROCPRIM_400000_NS6detail17trampoline_kernelINS0_14default_configENS1_22reduce_config_selectorIN6thrust23THRUST_200600_302600_NS5tupleIbffNS6_9null_typeES8_S8_S8_S8_S8_S8_EEEEZNS1_11reduce_implILb1ES3_PS9_SC_S9_12reduce_tupleIifEEE10hipError_tPvRmT1_T2_T3_mT4_P12ihipStream_tbEUlT_E1_NS1_11comp_targetILNS1_3genE9ELNS1_11target_archE1100ELNS1_3gpuE3ELNS1_3repE0EEENS1_30default_config_static_selectorELNS0_4arch9wavefront6targetE0EEEvSI_
; %bb.0:
	s_clause 0x3
	s_load_b32 s27, s[0:1], 0x4
	s_load_b128 s[16:19], s[0:1], 0x8
	s_load_b32 s26, s[0:1], 0x20
	s_load_b64 s[22:23], s[0:1], 0x24
	s_mov_b32 s20, s15
	s_waitcnt lgkmcnt(0)
	s_cmp_lt_i32 s27, 4
	s_cbranch_scc1 .LBB17_102
; %bb.1:
	s_cmp_gt_i32 s27, 7
	s_cbranch_scc0 .LBB17_103
; %bb.2:
	s_cmp_gt_i32 s27, 15
	s_cbranch_scc0 .LBB17_104
; %bb.3:
	s_cmp_eq_u32 s27, 16
	s_mov_b32 s28, 0
	s_cbranch_scc0 .LBB17_105
; %bb.4:
	s_lshl_b32 s2, s20, 12
	s_mul_i32 s3, s20, 0xc000
	s_lshr_b64 s[4:5], s[18:19], 12
	s_mul_hi_u32 s6, s2, 12
	s_mov_b32 s21, 0
	s_add_u32 s24, s16, s3
	s_addc_u32 s25, s17, s6
	s_cmp_lg_u64 s[4:5], s[20:21]
	s_cbranch_scc0 .LBB17_174
; %bb.5:
	v_mad_u64_u32 v[31:32], null, v0, 12, s[24:25]
	s_mov_b32 s3, exec_lo
	s_delay_alu instid0(VALU_DEP_1) | instskip(NEXT) | instid1(VALU_DEP_2)
	v_add_co_u32 v1, vcc_lo, 0x1000, v31
	v_add_co_ci_u32_e32 v2, vcc_lo, 0, v32, vcc_lo
	v_add_co_u32 v3, vcc_lo, 0x2000, v31
	v_add_co_ci_u32_e32 v4, vcc_lo, 0, v32, vcc_lo
	;; [unrolled: 2-line block ×3, first 2 shown]
	s_clause 0x7
	global_load_u8 v48, v[31:32], off
	global_load_u8 v47, v[31:32], off offset:3072
	global_load_b64 v[29:30], v[31:32], off offset:3076
	global_load_u8 v46, v[1:2], off offset:2048
	global_load_b64 v[27:28], v[1:2], off offset:2052
	global_load_u8 v45, v[3:4], off offset:1024
	global_load_b64 v[25:26], v[3:4], off offset:1028
	global_load_u8 v44, v[5:6], off
	v_add_co_u32 v1, vcc_lo, 0x4000, v31
	v_add_co_ci_u32_e32 v2, vcc_lo, 0, v32, vcc_lo
	v_add_co_u32 v3, vcc_lo, 0x5000, v31
	v_add_co_ci_u32_e32 v4, vcc_lo, 0, v32, vcc_lo
	v_add_co_u32 v7, vcc_lo, 0x6000, v31
	v_add_co_ci_u32_e32 v8, vcc_lo, 0, v32, vcc_lo
	s_clause 0x7
	global_load_b64 v[23:24], v[5:6], off offset:4
	global_load_u8 v43, v[5:6], off offset:3072
	global_load_b64 v[21:22], v[5:6], off offset:3076
	global_load_u8 v42, v[1:2], off offset:2048
	;; [unrolled: 2-line block ×3, first 2 shown]
	global_load_b64 v[17:18], v[3:4], off offset:1028
	global_load_u8 v40, v[7:8], off
	v_add_co_u32 v1, vcc_lo, 0x7000, v31
	v_add_co_ci_u32_e32 v2, vcc_lo, 0, v32, vcc_lo
	v_add_co_u32 v3, vcc_lo, 0x8000, v31
	v_add_co_ci_u32_e32 v4, vcc_lo, 0, v32, vcc_lo
	;; [unrolled: 2-line block ×3, first 2 shown]
	s_clause 0x7
	global_load_b64 v[15:16], v[7:8], off offset:4
	global_load_u8 v39, v[7:8], off offset:3072
	global_load_b64 v[13:14], v[7:8], off offset:3076
	global_load_u8 v38, v[1:2], off offset:2048
	global_load_b64 v[11:12], v[1:2], off offset:2052
	global_load_u8 v37, v[3:4], off offset:1024
	global_load_b64 v[9:10], v[3:4], off offset:1028
	global_load_u8 v36, v[5:6], off
	v_add_co_u32 v1, vcc_lo, 0xa000, v31
	v_add_co_ci_u32_e32 v2, vcc_lo, 0, v32, vcc_lo
	v_add_co_u32 v49, vcc_lo, 0xb000, v31
	v_add_co_ci_u32_e32 v50, vcc_lo, 0, v32, vcc_lo
	s_clause 0x6
	global_load_b64 v[7:8], v[5:6], off offset:4
	global_load_u8 v35, v[5:6], off offset:3072
	global_load_b64 v[5:6], v[5:6], off offset:3076
	global_load_u8 v34, v[1:2], off offset:2048
	;; [unrolled: 2-line block ×3, first 2 shown]
	global_load_b64 v[1:2], v[49:50], off offset:1028
	s_waitcnt vmcnt(30)
	v_and_b32_e32 v49, 1, v48
	s_delay_alu instid0(VALU_DEP_1)
	v_cmpx_eq_u32_e32 1, v49
	s_cbranch_execz .LBB17_9
; %bb.6:
	global_load_b64 v[31:32], v[31:32], off offset:4
	s_waitcnt vmcnt(30)
	v_and_b32_e32 v47, 1, v47
	s_mov_b32 s4, exec_lo
	s_delay_alu instid0(VALU_DEP_1)
	v_cmpx_eq_u32_e32 1, v47
	s_cbranch_execz .LBB17_8
; %bb.7:
	s_waitcnt vmcnt(0)
	v_cmp_lt_f32_e32 vcc_lo, v29, v31
	v_dual_mov_b32 v48, 1 :: v_dual_cndmask_b32 v31, v31, v29
	v_cmp_lt_f32_e32 vcc_lo, v32, v30
	v_cndmask_b32_e32 v32, v32, v30, vcc_lo
.LBB17_8:
	s_or_b32 exec_lo, exec_lo, s4
	s_delay_alu instid0(VALU_DEP_3) | instskip(SKIP_1) | instid1(VALU_DEP_2)
	v_mov_b32_e32 v47, v48
	s_waitcnt vmcnt(0)
	v_dual_mov_b32 v29, v31 :: v_dual_mov_b32 v30, v32
.LBB17_9:
	s_or_b32 exec_lo, exec_lo, s3
	s_waitcnt vmcnt(29)
	v_and_b32_e32 v31, 1, v47
	s_mov_b32 s3, exec_lo
	s_delay_alu instid0(VALU_DEP_1)
	v_cmpx_eq_u32_e32 1, v31
	s_cbranch_execz .LBB17_13
; %bb.10:
	s_waitcnt vmcnt(27)
	v_and_b32_e32 v31, 1, v46
	s_mov_b32 s4, exec_lo
	s_delay_alu instid0(VALU_DEP_1)
	v_cmpx_eq_u32_e32 1, v31
	s_cbranch_execz .LBB17_12
; %bb.11:
	s_waitcnt vmcnt(26)
	v_cmp_lt_f32_e32 vcc_lo, v27, v29
	v_mov_b32_e32 v47, 1
	v_cndmask_b32_e32 v29, v29, v27, vcc_lo
	v_cmp_lt_f32_e32 vcc_lo, v30, v28
	v_cndmask_b32_e32 v30, v30, v28, vcc_lo
.LBB17_12:
	s_or_b32 exec_lo, exec_lo, s4
	s_waitcnt vmcnt(26)
	v_dual_mov_b32 v46, v47 :: v_dual_mov_b32 v27, v29
	s_delay_alu instid0(VALU_DEP_2)
	v_mov_b32_e32 v28, v30
.LBB17_13:
	s_or_b32 exec_lo, exec_lo, s3
	s_waitcnt vmcnt(27)
	s_delay_alu instid0(VALU_DEP_2) | instskip(SKIP_1) | instid1(VALU_DEP_1)
	v_and_b32_e32 v29, 1, v46
	s_mov_b32 s3, exec_lo
	v_cmpx_eq_u32_e32 1, v29
	s_cbranch_execz .LBB17_17
; %bb.14:
	s_waitcnt vmcnt(25)
	v_and_b32_e32 v29, 1, v45
	s_mov_b32 s4, exec_lo
	s_delay_alu instid0(VALU_DEP_1)
	v_cmpx_eq_u32_e32 1, v29
	s_cbranch_execz .LBB17_16
; %bb.15:
	s_waitcnt vmcnt(24)
	v_cmp_lt_f32_e32 vcc_lo, v25, v27
	v_dual_mov_b32 v46, 1 :: v_dual_cndmask_b32 v27, v27, v25
	v_cmp_lt_f32_e32 vcc_lo, v28, v26
	v_cndmask_b32_e32 v28, v28, v26, vcc_lo
.LBB17_16:
	s_or_b32 exec_lo, exec_lo, s4
	s_waitcnt vmcnt(24)
	s_delay_alu instid0(VALU_DEP_1)
	v_dual_mov_b32 v45, v46 :: v_dual_mov_b32 v26, v28
	v_mov_b32_e32 v25, v27
.LBB17_17:
	s_or_b32 exec_lo, exec_lo, s3
	s_waitcnt vmcnt(25)
	s_delay_alu instid0(VALU_DEP_2) | instskip(SKIP_1) | instid1(VALU_DEP_1)
	v_and_b32_e32 v27, 1, v45
	s_mov_b32 s3, exec_lo
	v_cmpx_eq_u32_e32 1, v27
	s_cbranch_execz .LBB17_21
; %bb.18:
	s_waitcnt vmcnt(23)
	v_and_b32_e32 v27, 1, v44
	s_mov_b32 s4, exec_lo
	s_delay_alu instid0(VALU_DEP_1)
	v_cmpx_eq_u32_e32 1, v27
	s_cbranch_execz .LBB17_20
; %bb.19:
	s_waitcnt vmcnt(22)
	v_cmp_lt_f32_e32 vcc_lo, v23, v25
	v_mov_b32_e32 v45, 1
	v_cndmask_b32_e32 v25, v25, v23, vcc_lo
	v_cmp_lt_f32_e32 vcc_lo, v26, v24
	v_cndmask_b32_e32 v26, v26, v24, vcc_lo
.LBB17_20:
	s_or_b32 exec_lo, exec_lo, s4
	v_mov_b32_e32 v44, v45
	s_waitcnt vmcnt(22)
	s_delay_alu instid0(VALU_DEP_2)
	v_dual_mov_b32 v23, v25 :: v_dual_mov_b32 v24, v26
.LBB17_21:
	s_or_b32 exec_lo, exec_lo, s3
	s_waitcnt vmcnt(23)
	v_and_b32_e32 v25, 1, v44
	s_mov_b32 s3, exec_lo
	s_delay_alu instid0(VALU_DEP_1)
	v_cmpx_eq_u32_e32 1, v25
	s_cbranch_execz .LBB17_25
; %bb.22:
	s_waitcnt vmcnt(21)
	v_and_b32_e32 v25, 1, v43
	s_mov_b32 s4, exec_lo
	s_delay_alu instid0(VALU_DEP_1)
	v_cmpx_eq_u32_e32 1, v25
	s_cbranch_execz .LBB17_24
; %bb.23:
	s_waitcnt vmcnt(20)
	v_cmp_lt_f32_e32 vcc_lo, v21, v23
	v_dual_mov_b32 v44, 1 :: v_dual_cndmask_b32 v23, v23, v21
	v_cmp_lt_f32_e32 vcc_lo, v24, v22
	v_cndmask_b32_e32 v24, v24, v22, vcc_lo
.LBB17_24:
	s_or_b32 exec_lo, exec_lo, s4
	s_delay_alu instid0(VALU_DEP_3) | instskip(SKIP_1) | instid1(VALU_DEP_2)
	v_mov_b32_e32 v43, v44
	s_waitcnt vmcnt(20)
	v_dual_mov_b32 v21, v23 :: v_dual_mov_b32 v22, v24
.LBB17_25:
	s_or_b32 exec_lo, exec_lo, s3
	s_waitcnt vmcnt(21)
	v_and_b32_e32 v23, 1, v43
	s_mov_b32 s3, exec_lo
	s_delay_alu instid0(VALU_DEP_1)
	v_cmpx_eq_u32_e32 1, v23
	s_cbranch_execz .LBB17_29
; %bb.26:
	s_waitcnt vmcnt(19)
	v_and_b32_e32 v23, 1, v42
	s_mov_b32 s4, exec_lo
	s_delay_alu instid0(VALU_DEP_1)
	v_cmpx_eq_u32_e32 1, v23
	s_cbranch_execz .LBB17_28
; %bb.27:
	s_waitcnt vmcnt(18)
	v_cmp_lt_f32_e32 vcc_lo, v19, v21
	v_mov_b32_e32 v43, 1
	v_cndmask_b32_e32 v21, v21, v19, vcc_lo
	v_cmp_lt_f32_e32 vcc_lo, v22, v20
	v_cndmask_b32_e32 v22, v22, v20, vcc_lo
.LBB17_28:
	s_or_b32 exec_lo, exec_lo, s4
	s_waitcnt vmcnt(18)
	v_dual_mov_b32 v42, v43 :: v_dual_mov_b32 v19, v21
	s_delay_alu instid0(VALU_DEP_2)
	v_mov_b32_e32 v20, v22
.LBB17_29:
	s_or_b32 exec_lo, exec_lo, s3
	s_waitcnt vmcnt(19)
	s_delay_alu instid0(VALU_DEP_2) | instskip(SKIP_1) | instid1(VALU_DEP_1)
	v_and_b32_e32 v21, 1, v42
	s_mov_b32 s3, exec_lo
	v_cmpx_eq_u32_e32 1, v21
	s_cbranch_execz .LBB17_33
; %bb.30:
	s_waitcnt vmcnt(17)
	v_and_b32_e32 v21, 1, v41
	s_mov_b32 s4, exec_lo
	s_delay_alu instid0(VALU_DEP_1)
	v_cmpx_eq_u32_e32 1, v21
	s_cbranch_execz .LBB17_32
; %bb.31:
	s_waitcnt vmcnt(16)
	v_cmp_lt_f32_e32 vcc_lo, v17, v19
	v_dual_mov_b32 v42, 1 :: v_dual_cndmask_b32 v19, v19, v17
	v_cmp_lt_f32_e32 vcc_lo, v20, v18
	v_cndmask_b32_e32 v20, v20, v18, vcc_lo
.LBB17_32:
	s_or_b32 exec_lo, exec_lo, s4
	s_waitcnt vmcnt(16)
	s_delay_alu instid0(VALU_DEP_1)
	v_dual_mov_b32 v41, v42 :: v_dual_mov_b32 v18, v20
	v_mov_b32_e32 v17, v19
.LBB17_33:
	s_or_b32 exec_lo, exec_lo, s3
	s_waitcnt vmcnt(17)
	s_delay_alu instid0(VALU_DEP_2) | instskip(SKIP_1) | instid1(VALU_DEP_1)
	v_and_b32_e32 v19, 1, v41
	s_mov_b32 s3, exec_lo
	v_cmpx_eq_u32_e32 1, v19
	s_cbranch_execz .LBB17_37
; %bb.34:
	s_waitcnt vmcnt(15)
	v_and_b32_e32 v19, 1, v40
	s_mov_b32 s4, exec_lo
	s_delay_alu instid0(VALU_DEP_1)
	v_cmpx_eq_u32_e32 1, v19
	s_cbranch_execz .LBB17_36
; %bb.35:
	s_waitcnt vmcnt(14)
	v_cmp_lt_f32_e32 vcc_lo, v15, v17
	v_mov_b32_e32 v41, 1
	v_cndmask_b32_e32 v17, v17, v15, vcc_lo
	v_cmp_lt_f32_e32 vcc_lo, v18, v16
	v_cndmask_b32_e32 v18, v18, v16, vcc_lo
.LBB17_36:
	s_or_b32 exec_lo, exec_lo, s4
	v_mov_b32_e32 v40, v41
	s_waitcnt vmcnt(14)
	s_delay_alu instid0(VALU_DEP_2)
	v_dual_mov_b32 v15, v17 :: v_dual_mov_b32 v16, v18
.LBB17_37:
	s_or_b32 exec_lo, exec_lo, s3
	s_waitcnt vmcnt(15)
	v_and_b32_e32 v17, 1, v40
	s_mov_b32 s3, exec_lo
	s_delay_alu instid0(VALU_DEP_1)
	v_cmpx_eq_u32_e32 1, v17
	s_cbranch_execz .LBB17_41
; %bb.38:
	s_waitcnt vmcnt(13)
	v_and_b32_e32 v17, 1, v39
	s_mov_b32 s4, exec_lo
	s_delay_alu instid0(VALU_DEP_1)
	v_cmpx_eq_u32_e32 1, v17
	s_cbranch_execz .LBB17_40
; %bb.39:
	s_waitcnt vmcnt(12)
	v_cmp_lt_f32_e32 vcc_lo, v13, v15
	v_dual_mov_b32 v40, 1 :: v_dual_cndmask_b32 v15, v15, v13
	v_cmp_lt_f32_e32 vcc_lo, v16, v14
	v_cndmask_b32_e32 v16, v16, v14, vcc_lo
.LBB17_40:
	s_or_b32 exec_lo, exec_lo, s4
	s_delay_alu instid0(VALU_DEP_3) | instskip(SKIP_1) | instid1(VALU_DEP_2)
	v_mov_b32_e32 v39, v40
	s_waitcnt vmcnt(12)
	v_dual_mov_b32 v13, v15 :: v_dual_mov_b32 v14, v16
.LBB17_41:
	s_or_b32 exec_lo, exec_lo, s3
	s_waitcnt vmcnt(13)
	v_and_b32_e32 v15, 1, v39
	s_mov_b32 s3, exec_lo
	s_delay_alu instid0(VALU_DEP_1)
	v_cmpx_eq_u32_e32 1, v15
	s_cbranch_execz .LBB17_45
; %bb.42:
	s_waitcnt vmcnt(11)
	v_and_b32_e32 v15, 1, v38
	s_mov_b32 s4, exec_lo
	s_delay_alu instid0(VALU_DEP_1)
	v_cmpx_eq_u32_e32 1, v15
	s_cbranch_execz .LBB17_44
; %bb.43:
	s_waitcnt vmcnt(10)
	v_cmp_lt_f32_e32 vcc_lo, v11, v13
	v_mov_b32_e32 v39, 1
	v_cndmask_b32_e32 v13, v13, v11, vcc_lo
	v_cmp_lt_f32_e32 vcc_lo, v14, v12
	v_cndmask_b32_e32 v14, v14, v12, vcc_lo
.LBB17_44:
	s_or_b32 exec_lo, exec_lo, s4
	s_waitcnt vmcnt(10)
	v_dual_mov_b32 v38, v39 :: v_dual_mov_b32 v11, v13
	s_delay_alu instid0(VALU_DEP_2)
	v_mov_b32_e32 v12, v14
.LBB17_45:
	s_or_b32 exec_lo, exec_lo, s3
	s_waitcnt vmcnt(11)
	s_delay_alu instid0(VALU_DEP_2) | instskip(SKIP_1) | instid1(VALU_DEP_1)
	v_and_b32_e32 v13, 1, v38
	s_mov_b32 s3, exec_lo
	v_cmpx_eq_u32_e32 1, v13
	s_cbranch_execz .LBB17_49
; %bb.46:
	s_waitcnt vmcnt(9)
	v_and_b32_e32 v13, 1, v37
	s_mov_b32 s4, exec_lo
	s_delay_alu instid0(VALU_DEP_1)
	v_cmpx_eq_u32_e32 1, v13
	s_cbranch_execz .LBB17_48
; %bb.47:
	s_waitcnt vmcnt(8)
	v_cmp_lt_f32_e32 vcc_lo, v9, v11
	v_dual_mov_b32 v38, 1 :: v_dual_cndmask_b32 v11, v11, v9
	v_cmp_lt_f32_e32 vcc_lo, v12, v10
	v_cndmask_b32_e32 v12, v12, v10, vcc_lo
.LBB17_48:
	s_or_b32 exec_lo, exec_lo, s4
	s_waitcnt vmcnt(8)
	s_delay_alu instid0(VALU_DEP_1)
	v_dual_mov_b32 v37, v38 :: v_dual_mov_b32 v10, v12
	v_mov_b32_e32 v9, v11
.LBB17_49:
	s_or_b32 exec_lo, exec_lo, s3
	s_waitcnt vmcnt(9)
	s_delay_alu instid0(VALU_DEP_2) | instskip(SKIP_1) | instid1(VALU_DEP_1)
	v_and_b32_e32 v11, 1, v37
	s_mov_b32 s3, exec_lo
	v_cmpx_eq_u32_e32 1, v11
	s_cbranch_execz .LBB17_53
; %bb.50:
	s_waitcnt vmcnt(7)
	v_and_b32_e32 v11, 1, v36
	s_mov_b32 s4, exec_lo
	s_delay_alu instid0(VALU_DEP_1)
	v_cmpx_eq_u32_e32 1, v11
	s_cbranch_execz .LBB17_52
; %bb.51:
	s_waitcnt vmcnt(6)
	v_cmp_lt_f32_e32 vcc_lo, v7, v9
	v_mov_b32_e32 v37, 1
	v_cndmask_b32_e32 v9, v9, v7, vcc_lo
	v_cmp_lt_f32_e32 vcc_lo, v10, v8
	v_cndmask_b32_e32 v10, v10, v8, vcc_lo
.LBB17_52:
	s_or_b32 exec_lo, exec_lo, s4
	v_mov_b32_e32 v36, v37
	s_waitcnt vmcnt(6)
	s_delay_alu instid0(VALU_DEP_2)
	v_dual_mov_b32 v7, v9 :: v_dual_mov_b32 v8, v10
.LBB17_53:
	s_or_b32 exec_lo, exec_lo, s3
	s_waitcnt vmcnt(7)
	v_and_b32_e32 v9, 1, v36
	s_mov_b32 s3, exec_lo
	s_delay_alu instid0(VALU_DEP_1)
	v_cmpx_eq_u32_e32 1, v9
	s_cbranch_execz .LBB17_57
; %bb.54:
	s_waitcnt vmcnt(5)
	v_and_b32_e32 v9, 1, v35
	s_mov_b32 s4, exec_lo
	s_delay_alu instid0(VALU_DEP_1)
	v_cmpx_eq_u32_e32 1, v9
	s_cbranch_execz .LBB17_56
; %bb.55:
	s_waitcnt vmcnt(4)
	v_cmp_lt_f32_e32 vcc_lo, v5, v7
	v_dual_mov_b32 v36, 1 :: v_dual_cndmask_b32 v7, v7, v5
	v_cmp_lt_f32_e32 vcc_lo, v8, v6
	v_cndmask_b32_e32 v8, v8, v6, vcc_lo
.LBB17_56:
	s_or_b32 exec_lo, exec_lo, s4
	s_delay_alu instid0(VALU_DEP_3) | instskip(SKIP_1) | instid1(VALU_DEP_2)
	v_mov_b32_e32 v35, v36
	s_waitcnt vmcnt(4)
	v_dual_mov_b32 v5, v7 :: v_dual_mov_b32 v6, v8
.LBB17_57:
	s_or_b32 exec_lo, exec_lo, s3
	s_waitcnt vmcnt(5)
	v_and_b32_e32 v7, 1, v35
	s_mov_b32 s3, exec_lo
	s_delay_alu instid0(VALU_DEP_1)
	v_cmpx_eq_u32_e32 1, v7
	s_cbranch_execz .LBB17_61
; %bb.58:
	s_waitcnt vmcnt(3)
	v_and_b32_e32 v7, 1, v34
	s_mov_b32 s4, exec_lo
	s_delay_alu instid0(VALU_DEP_1)
	v_cmpx_eq_u32_e32 1, v7
	s_cbranch_execz .LBB17_60
; %bb.59:
	s_waitcnt vmcnt(2)
	v_cmp_lt_f32_e32 vcc_lo, v3, v5
	v_mov_b32_e32 v35, 1
	v_cndmask_b32_e32 v5, v5, v3, vcc_lo
	v_cmp_lt_f32_e32 vcc_lo, v6, v4
	v_cndmask_b32_e32 v6, v6, v4, vcc_lo
.LBB17_60:
	s_or_b32 exec_lo, exec_lo, s4
	s_waitcnt vmcnt(2)
	v_dual_mov_b32 v34, v35 :: v_dual_mov_b32 v3, v5
	s_delay_alu instid0(VALU_DEP_2)
	v_mov_b32_e32 v4, v6
.LBB17_61:
	s_or_b32 exec_lo, exec_lo, s3
	s_waitcnt vmcnt(3)
	s_delay_alu instid0(VALU_DEP_2) | instskip(SKIP_1) | instid1(VALU_DEP_1)
	v_and_b32_e32 v5, 1, v34
	s_mov_b32 s3, exec_lo
	v_cmpx_eq_u32_e32 1, v5
	s_cbranch_execz .LBB17_65
; %bb.62:
	s_waitcnt vmcnt(1)
	v_and_b32_e32 v5, 1, v33
	s_mov_b32 s4, exec_lo
	s_delay_alu instid0(VALU_DEP_1)
	v_cmpx_eq_u32_e32 1, v5
	s_cbranch_execz .LBB17_64
; %bb.63:
	s_waitcnt vmcnt(0)
	v_cmp_lt_f32_e32 vcc_lo, v1, v3
	v_dual_mov_b32 v34, 1 :: v_dual_cndmask_b32 v3, v3, v1
	v_cmp_lt_f32_e32 vcc_lo, v4, v2
	v_cndmask_b32_e32 v4, v4, v2, vcc_lo
.LBB17_64:
	s_or_b32 exec_lo, exec_lo, s4
	s_waitcnt vmcnt(0)
	s_delay_alu instid0(VALU_DEP_1)
	v_dual_mov_b32 v33, v34 :: v_dual_mov_b32 v2, v4
	v_mov_b32_e32 v1, v3
.LBB17_65:
	s_or_b32 exec_lo, exec_lo, s3
	s_waitcnt vmcnt(1)
	s_delay_alu instid0(VALU_DEP_2) | instskip(SKIP_3) | instid1(VALU_DEP_2)
	v_and_b32_e32 v3, 0xff, v33
	s_waitcnt vmcnt(0)
	v_mov_b32_dpp v4, v1 quad_perm:[1,0,3,2] row_mask:0xf bank_mask:0xf
	s_mov_b32 s3, exec_lo
	v_mov_b32_dpp v5, v3 quad_perm:[1,0,3,2] row_mask:0xf bank_mask:0xf
	v_mov_b32_dpp v3, v2 quad_perm:[1,0,3,2] row_mask:0xf bank_mask:0xf
	s_delay_alu instid0(VALU_DEP_2) | instskip(NEXT) | instid1(VALU_DEP_1)
	v_and_b32_e32 v6, 1, v5
	v_cmpx_eq_u32_e32 1, v6
	s_xor_b32 s3, exec_lo, s3
	s_cbranch_execz .LBB17_69
; %bb.66:
	v_and_b32_e32 v6, 1, v33
	s_mov_b32 s4, exec_lo
	s_delay_alu instid0(VALU_DEP_1)
	v_cmpx_eq_u32_e32 1, v6
; %bb.67:
	v_cmp_gt_f32_e32 vcc_lo, v2, v3
	v_mov_b32_e32 v5, 1
	v_cndmask_b32_e32 v3, v3, v2, vcc_lo
	v_cmp_lt_f32_e32 vcc_lo, v1, v4
	v_cndmask_b32_e32 v4, v4, v1, vcc_lo
; %bb.68:
	s_or_b32 exec_lo, exec_lo, s4
	s_delay_alu instid0(VALU_DEP_3) | instskip(NEXT) | instid1(VALU_DEP_2)
	v_dual_mov_b32 v33, v5 :: v_dual_mov_b32 v2, v3
	v_mov_b32_e32 v1, v4
.LBB17_69:
	s_or_b32 exec_lo, exec_lo, s3
	s_delay_alu instid0(VALU_DEP_2) | instskip(NEXT) | instid1(VALU_DEP_2)
	v_and_b32_e32 v3, 0xff, v33
	v_mov_b32_dpp v4, v1 quad_perm:[2,3,0,1] row_mask:0xf bank_mask:0xf
	s_mov_b32 s3, exec_lo
	s_delay_alu instid0(VALU_DEP_2) | instskip(SKIP_1) | instid1(VALU_DEP_2)
	v_mov_b32_dpp v5, v3 quad_perm:[2,3,0,1] row_mask:0xf bank_mask:0xf
	v_mov_b32_dpp v3, v2 quad_perm:[2,3,0,1] row_mask:0xf bank_mask:0xf
	v_and_b32_e32 v6, 1, v5
	s_delay_alu instid0(VALU_DEP_1)
	v_cmpx_eq_u32_e32 1, v6
	s_cbranch_execz .LBB17_73
; %bb.70:
	v_and_b32_e32 v6, 1, v33
	s_mov_b32 s4, exec_lo
	s_delay_alu instid0(VALU_DEP_1)
	v_cmpx_eq_u32_e32 1, v6
; %bb.71:
	v_cmp_gt_f32_e32 vcc_lo, v2, v3
	v_mov_b32_e32 v5, 1
	v_cndmask_b32_e32 v3, v3, v2, vcc_lo
	v_cmp_lt_f32_e32 vcc_lo, v1, v4
	v_cndmask_b32_e32 v4, v4, v1, vcc_lo
; %bb.72:
	s_or_b32 exec_lo, exec_lo, s4
	s_delay_alu instid0(VALU_DEP_3) | instskip(NEXT) | instid1(VALU_DEP_2)
	v_dual_mov_b32 v33, v5 :: v_dual_mov_b32 v2, v3
	v_mov_b32_e32 v1, v4
.LBB17_73:
	s_or_b32 exec_lo, exec_lo, s3
	s_delay_alu instid0(VALU_DEP_2) | instskip(NEXT) | instid1(VALU_DEP_2)
	v_and_b32_e32 v3, 0xff, v33
	v_mov_b32_dpp v4, v1 row_ror:4 row_mask:0xf bank_mask:0xf
	s_mov_b32 s3, exec_lo
	s_delay_alu instid0(VALU_DEP_2) | instskip(SKIP_1) | instid1(VALU_DEP_2)
	v_mov_b32_dpp v5, v3 row_ror:4 row_mask:0xf bank_mask:0xf
	v_mov_b32_dpp v3, v2 row_ror:4 row_mask:0xf bank_mask:0xf
	v_and_b32_e32 v6, 1, v5
	s_delay_alu instid0(VALU_DEP_1)
	v_cmpx_eq_u32_e32 1, v6
	s_cbranch_execz .LBB17_77
; %bb.74:
	v_and_b32_e32 v6, 1, v33
	s_mov_b32 s4, exec_lo
	s_delay_alu instid0(VALU_DEP_1)
	v_cmpx_eq_u32_e32 1, v6
; %bb.75:
	v_cmp_gt_f32_e32 vcc_lo, v2, v3
	v_mov_b32_e32 v5, 1
	v_cndmask_b32_e32 v3, v3, v2, vcc_lo
	v_cmp_lt_f32_e32 vcc_lo, v1, v4
	v_cndmask_b32_e32 v4, v4, v1, vcc_lo
; %bb.76:
	s_or_b32 exec_lo, exec_lo, s4
	s_delay_alu instid0(VALU_DEP_3) | instskip(NEXT) | instid1(VALU_DEP_2)
	v_dual_mov_b32 v33, v5 :: v_dual_mov_b32 v2, v3
	v_mov_b32_e32 v1, v4
.LBB17_77:
	s_or_b32 exec_lo, exec_lo, s3
	s_delay_alu instid0(VALU_DEP_2) | instskip(NEXT) | instid1(VALU_DEP_2)
	v_and_b32_e32 v3, 0xff, v33
	v_mov_b32_dpp v4, v1 row_ror:8 row_mask:0xf bank_mask:0xf
	s_mov_b32 s3, exec_lo
	s_delay_alu instid0(VALU_DEP_2) | instskip(SKIP_1) | instid1(VALU_DEP_2)
	v_mov_b32_dpp v5, v3 row_ror:8 row_mask:0xf bank_mask:0xf
	v_mov_b32_dpp v3, v2 row_ror:8 row_mask:0xf bank_mask:0xf
	v_and_b32_e32 v6, 1, v5
	s_delay_alu instid0(VALU_DEP_1)
	v_cmpx_eq_u32_e32 1, v6
	s_cbranch_execz .LBB17_81
; %bb.78:
	v_and_b32_e32 v6, 1, v33
	s_mov_b32 s4, exec_lo
	s_delay_alu instid0(VALU_DEP_1)
	v_cmpx_eq_u32_e32 1, v6
; %bb.79:
	v_cmp_gt_f32_e32 vcc_lo, v2, v3
	v_mov_b32_e32 v5, 1
	v_cndmask_b32_e32 v3, v3, v2, vcc_lo
	v_cmp_lt_f32_e32 vcc_lo, v1, v4
	v_cndmask_b32_e32 v4, v4, v1, vcc_lo
; %bb.80:
	s_or_b32 exec_lo, exec_lo, s4
	s_delay_alu instid0(VALU_DEP_3) | instskip(NEXT) | instid1(VALU_DEP_2)
	v_dual_mov_b32 v33, v5 :: v_dual_mov_b32 v2, v3
	v_mov_b32_e32 v1, v4
.LBB17_81:
	s_or_b32 exec_lo, exec_lo, s3
	s_delay_alu instid0(VALU_DEP_2)
	v_and_b32_e32 v3, 0xff, v33
	ds_swizzle_b32 v4, v1 offset:swizzle(BROADCAST,32,15)
	s_mov_b32 s3, exec_lo
	ds_swizzle_b32 v5, v3 offset:swizzle(BROADCAST,32,15)
	ds_swizzle_b32 v3, v2 offset:swizzle(BROADCAST,32,15)
	s_waitcnt lgkmcnt(1)
	v_and_b32_e32 v6, 1, v5
	s_delay_alu instid0(VALU_DEP_1)
	v_cmpx_eq_u32_e32 1, v6
	s_cbranch_execz .LBB17_85
; %bb.82:
	v_and_b32_e32 v6, 1, v33
	s_mov_b32 s4, exec_lo
	s_delay_alu instid0(VALU_DEP_1)
	v_cmpx_eq_u32_e32 1, v6
	s_cbranch_execz .LBB17_84
; %bb.83:
	s_waitcnt lgkmcnt(0)
	v_cmp_gt_f32_e32 vcc_lo, v2, v3
	v_mov_b32_e32 v5, 1
	v_cndmask_b32_e32 v3, v3, v2, vcc_lo
	v_cmp_lt_f32_e32 vcc_lo, v1, v4
	v_cndmask_b32_e32 v4, v4, v1, vcc_lo
.LBB17_84:
	s_or_b32 exec_lo, exec_lo, s4
	s_waitcnt lgkmcnt(0)
	v_dual_mov_b32 v33, v5 :: v_dual_mov_b32 v2, v3
	s_delay_alu instid0(VALU_DEP_2)
	v_mov_b32_e32 v1, v4
.LBB17_85:
	s_or_b32 exec_lo, exec_lo, s3
	s_waitcnt lgkmcnt(0)
	s_delay_alu instid0(VALU_DEP_2)
	v_dual_mov_b32 v4, 0 :: v_dual_and_b32 v3, 0xff, v33
	s_mov_b32 s3, exec_lo
	ds_bpermute_b32 v5, v4, v3 offset:124
	ds_bpermute_b32 v1, v4, v1 offset:124
	ds_bpermute_b32 v2, v4, v2 offset:124
	v_mbcnt_lo_u32_b32 v3, -1, 0
	s_delay_alu instid0(VALU_DEP_1)
	v_cmpx_eq_u32_e32 0, v3
	s_cbranch_execz .LBB17_87
; %bb.86:
	v_lshrrev_b32_e32 v4, 5, v0
	s_delay_alu instid0(VALU_DEP_1)
	v_mul_u32_u24_e32 v4, 12, v4
	s_waitcnt lgkmcnt(2)
	ds_store_b8 v4, v5 offset:96
	s_waitcnt lgkmcnt(1)
	ds_store_2addr_b32 v4, v1, v2 offset0:25 offset1:26
.LBB17_87:
	s_or_b32 exec_lo, exec_lo, s3
	s_delay_alu instid0(SALU_CYCLE_1)
	s_mov_b32 s3, exec_lo
	s_waitcnt lgkmcnt(0)
	s_barrier
	buffer_gl0_inv
	v_cmpx_gt_u32_e32 32, v0
	s_cbranch_execz .LBB17_101
; %bb.88:
	v_and_b32_e32 v4, 7, v3
	s_mov_b32 s4, exec_lo
	s_delay_alu instid0(VALU_DEP_1) | instskip(SKIP_4) | instid1(VALU_DEP_1)
	v_mul_u32_u24_e32 v1, 12, v4
	v_cmp_ne_u32_e32 vcc_lo, 7, v4
	ds_load_u8 v7, v1 offset:96
	ds_load_2addr_b32 v[1:2], v1 offset0:25 offset1:26
	v_add_co_ci_u32_e32 v5, vcc_lo, 0, v3, vcc_lo
	v_lshlrev_b32_e32 v5, 2, v5
	s_waitcnt lgkmcnt(1)
	v_and_b32_e32 v8, 0xff, v7
	s_waitcnt lgkmcnt(0)
	ds_bpermute_b32 v6, v5, v1
	ds_bpermute_b32 v10, v5, v8
	ds_bpermute_b32 v5, v5, v2
	v_and_b32_e32 v8, 1, v7
	s_delay_alu instid0(VALU_DEP_1)
	v_cmpx_eq_u32_e32 1, v8
	s_cbranch_execz .LBB17_92
; %bb.89:
	s_waitcnt lgkmcnt(1)
	v_and_b32_e32 v8, 1, v10
	s_mov_b32 s5, exec_lo
	s_delay_alu instid0(VALU_DEP_1)
	v_cmpx_eq_u32_e32 1, v8
	s_cbranch_execz .LBB17_91
; %bb.90:
	v_cmp_gt_f32_e32 vcc_lo, v1, v6
	v_mov_b32_e32 v7, 1
	v_cndmask_b32_e32 v1, v1, v6, vcc_lo
	s_waitcnt lgkmcnt(0)
	v_cmp_lt_f32_e32 vcc_lo, v2, v5
	v_cndmask_b32_e32 v2, v2, v5, vcc_lo
.LBB17_91:
	s_or_b32 exec_lo, exec_lo, s5
	s_waitcnt lgkmcnt(0)
	s_delay_alu instid0(VALU_DEP_1)
	v_dual_mov_b32 v10, v7 :: v_dual_mov_b32 v5, v2
	v_mov_b32_e32 v6, v1
.LBB17_92:
	s_or_b32 exec_lo, exec_lo, s4
	v_cmp_gt_u32_e32 vcc_lo, 6, v4
	s_waitcnt lgkmcnt(1)
	v_and_b32_e32 v2, 0xff, v10
	s_mov_b32 s4, exec_lo
	v_cndmask_b32_e64 v1, 0, 1, vcc_lo
	s_delay_alu instid0(VALU_DEP_1) | instskip(NEXT) | instid1(VALU_DEP_1)
	v_lshlrev_b32_e32 v1, 1, v1
	v_add_lshl_u32 v1, v1, v3, 2
	ds_bpermute_b32 v9, v1, v2
	ds_bpermute_b32 v8, v1, v6
	s_waitcnt lgkmcnt(2)
	ds_bpermute_b32 v7, v1, v5
	v_and_b32_e32 v1, 1, v10
	s_delay_alu instid0(VALU_DEP_1)
	v_cmpx_eq_u32_e32 1, v1
	s_cbranch_execz .LBB17_96
; %bb.93:
	s_waitcnt lgkmcnt(2)
	v_and_b32_e32 v1, 1, v9
	s_mov_b32 s5, exec_lo
	s_delay_alu instid0(VALU_DEP_1)
	v_cmpx_eq_u32_e32 1, v1
	s_cbranch_execz .LBB17_95
; %bb.94:
	s_waitcnt lgkmcnt(1)
	v_cmp_gt_f32_e32 vcc_lo, v6, v8
	v_mov_b32_e32 v10, 1
	v_cndmask_b32_e32 v6, v6, v8, vcc_lo
	s_waitcnt lgkmcnt(0)
	v_cmp_lt_f32_e32 vcc_lo, v5, v7
	v_cndmask_b32_e32 v5, v5, v7, vcc_lo
.LBB17_95:
	s_or_b32 exec_lo, exec_lo, s5
	v_mov_b32_e32 v9, v10
	s_waitcnt lgkmcnt(0)
	s_delay_alu instid0(VALU_DEP_2)
	v_dual_mov_b32 v8, v6 :: v_dual_mov_b32 v7, v5
.LBB17_96:
	s_or_b32 exec_lo, exec_lo, s4
	v_cmp_gt_u32_e32 vcc_lo, 4, v4
	s_waitcnt lgkmcnt(2)
	v_and_b32_e32 v2, 0xff, v9
	s_mov_b32 s4, exec_lo
	v_cndmask_b32_e64 v1, 0, 1, vcc_lo
	s_delay_alu instid0(VALU_DEP_1) | instskip(NEXT) | instid1(VALU_DEP_1)
	v_lshlrev_b32_e32 v1, 2, v1
	v_add_lshl_u32 v4, v1, v3, 2
	ds_bpermute_b32 v3, v4, v2
	s_waitcnt lgkmcnt(2)
	ds_bpermute_b32 v1, v4, v8
	s_waitcnt lgkmcnt(2)
	ds_bpermute_b32 v2, v4, v7
	v_and_b32_e32 v4, 1, v9
	s_delay_alu instid0(VALU_DEP_1)
	v_cmpx_eq_u32_e32 1, v4
	s_cbranch_execz .LBB17_100
; %bb.97:
	s_waitcnt lgkmcnt(2)
	v_and_b32_e32 v3, 1, v3
	s_mov_b32 s5, exec_lo
	s_delay_alu instid0(VALU_DEP_1)
	v_cmpx_eq_u32_e32 1, v3
	s_cbranch_execz .LBB17_99
; %bb.98:
	s_waitcnt lgkmcnt(1)
	v_cmp_gt_f32_e32 vcc_lo, v8, v1
	v_dual_mov_b32 v9, 1 :: v_dual_cndmask_b32 v8, v8, v1
	s_waitcnt lgkmcnt(0)
	v_cmp_lt_f32_e32 vcc_lo, v7, v2
	v_cndmask_b32_e32 v7, v7, v2, vcc_lo
.LBB17_99:
	s_or_b32 exec_lo, exec_lo, s5
	s_waitcnt lgkmcnt(0)
	s_delay_alu instid0(VALU_DEP_1)
	v_dual_mov_b32 v3, v9 :: v_dual_mov_b32 v2, v7
	v_mov_b32_e32 v1, v8
.LBB17_100:
	s_or_b32 exec_lo, exec_lo, s4
	s_waitcnt lgkmcnt(2)
	s_delay_alu instid0(VALU_DEP_2)
	v_and_b32_e32 v5, 0xff, v3
.LBB17_101:
	s_or_b32 exec_lo, exec_lo, s3
	s_mov_b32 s3, 0
	s_branch .LBB17_175
.LBB17_102:
	s_mov_b32 s10, 0
                                        ; implicit-def: $vgpr4
                                        ; implicit-def: $vgpr6
	s_cbranch_execnz .LBB17_619
	s_branch .LBB17_776
.LBB17_103:
	s_mov_b32 s10, 0
                                        ; implicit-def: $vgpr4
                                        ; implicit-def: $vgpr6
	s_cbranch_execnz .LBB17_479
	s_branch .LBB17_531
.LBB17_104:
	s_mov_b32 s28, -1
.LBB17_105:
	s_mov_b32 s10, 0
                                        ; implicit-def: $vgpr4
                                        ; implicit-def: $vgpr6
	s_and_b32 vcc_lo, exec_lo, s28
	s_cbranch_vccz .LBB17_382
.LBB17_106:
	s_cmp_eq_u32 s27, 8
	s_cbranch_scc0 .LBB17_173
; %bb.107:
	s_lshl_b32 s2, s20, 11
	s_mul_i32 s3, s20, 0x6000
	s_lshr_b64 s[4:5], s[18:19], 11
	s_mul_hi_u32 s6, s2, 12
	s_mov_b32 s21, 0
	s_add_u32 s8, s16, s3
	s_addc_u32 s9, s17, s6
	s_cmp_lg_u64 s[4:5], s[20:21]
	s_cbranch_scc0 .LBB17_222
; %bb.108:
	v_mad_u64_u32 v[15:16], null, v0, 12, s[8:9]
	s_mov_b32 s3, exec_lo
	s_waitcnt lgkmcnt(1)
	s_delay_alu instid0(VALU_DEP_1) | instskip(SKIP_1) | instid1(VALU_DEP_2)
	v_add_co_u32 v1, vcc_lo, 0x1000, v15
	s_waitcnt lgkmcnt(0)
	v_add_co_ci_u32_e32 v2, vcc_lo, 0, v16, vcc_lo
	v_add_co_u32 v3, vcc_lo, 0x2000, v15
	v_add_co_ci_u32_e32 v4, vcc_lo, 0, v16, vcc_lo
	v_add_co_u32 v5, vcc_lo, 0x3000, v15
	v_add_co_ci_u32_e32 v6, vcc_lo, 0, v16, vcc_lo
	s_clause 0x7
	global_load_u8 v24, v[15:16], off
	global_load_u8 v23, v[15:16], off offset:3072
	global_load_b64 v[13:14], v[15:16], off offset:3076
	global_load_u8 v22, v[1:2], off offset:2048
	global_load_b64 v[11:12], v[1:2], off offset:2052
	;; [unrolled: 2-line block ×3, first 2 shown]
	global_load_u8 v20, v[5:6], off
	v_add_co_u32 v1, vcc_lo, 0x4000, v15
	v_add_co_ci_u32_e32 v2, vcc_lo, 0, v16, vcc_lo
	v_add_co_u32 v25, vcc_lo, 0x5000, v15
	v_add_co_ci_u32_e32 v26, vcc_lo, 0, v16, vcc_lo
	s_clause 0x6
	global_load_b64 v[7:8], v[5:6], off offset:4
	global_load_u8 v19, v[5:6], off offset:3072
	global_load_b64 v[5:6], v[5:6], off offset:3076
	global_load_u8 v18, v[1:2], off offset:2048
	;; [unrolled: 2-line block ×3, first 2 shown]
	global_load_b64 v[1:2], v[25:26], off offset:1028
	s_waitcnt vmcnt(14)
	v_and_b32_e32 v25, 1, v24
	s_delay_alu instid0(VALU_DEP_1)
	v_cmpx_eq_u32_e32 1, v25
	s_cbranch_execz .LBB17_112
; %bb.109:
	global_load_b64 v[15:16], v[15:16], off offset:4
	s_waitcnt vmcnt(14)
	v_and_b32_e32 v23, 1, v23
	s_mov_b32 s4, exec_lo
	s_delay_alu instid0(VALU_DEP_1)
	v_cmpx_eq_u32_e32 1, v23
	s_cbranch_execz .LBB17_111
; %bb.110:
	s_waitcnt vmcnt(0)
	v_cmp_lt_f32_e32 vcc_lo, v13, v15
	v_dual_mov_b32 v24, 1 :: v_dual_cndmask_b32 v15, v15, v13
	v_cmp_lt_f32_e32 vcc_lo, v16, v14
	v_cndmask_b32_e32 v16, v16, v14, vcc_lo
.LBB17_111:
	s_or_b32 exec_lo, exec_lo, s4
	s_delay_alu instid0(VALU_DEP_3) | instskip(SKIP_1) | instid1(VALU_DEP_2)
	v_mov_b32_e32 v23, v24
	s_waitcnt vmcnt(0)
	v_dual_mov_b32 v13, v15 :: v_dual_mov_b32 v14, v16
.LBB17_112:
	s_or_b32 exec_lo, exec_lo, s3
	s_waitcnt vmcnt(13)
	v_and_b32_e32 v15, 1, v23
	s_mov_b32 s3, exec_lo
	s_delay_alu instid0(VALU_DEP_1)
	v_cmpx_eq_u32_e32 1, v15
	s_cbranch_execz .LBB17_116
; %bb.113:
	s_waitcnt vmcnt(11)
	v_and_b32_e32 v15, 1, v22
	s_mov_b32 s4, exec_lo
	s_delay_alu instid0(VALU_DEP_1)
	v_cmpx_eq_u32_e32 1, v15
	s_cbranch_execz .LBB17_115
; %bb.114:
	s_waitcnt vmcnt(10)
	v_cmp_lt_f32_e32 vcc_lo, v11, v13
	v_mov_b32_e32 v23, 1
	v_cndmask_b32_e32 v13, v13, v11, vcc_lo
	v_cmp_lt_f32_e32 vcc_lo, v14, v12
	v_cndmask_b32_e32 v14, v14, v12, vcc_lo
.LBB17_115:
	s_or_b32 exec_lo, exec_lo, s4
	s_waitcnt vmcnt(10)
	v_dual_mov_b32 v22, v23 :: v_dual_mov_b32 v11, v13
	s_delay_alu instid0(VALU_DEP_2)
	v_mov_b32_e32 v12, v14
.LBB17_116:
	s_or_b32 exec_lo, exec_lo, s3
	s_waitcnt vmcnt(11)
	s_delay_alu instid0(VALU_DEP_2) | instskip(SKIP_1) | instid1(VALU_DEP_1)
	v_and_b32_e32 v13, 1, v22
	s_mov_b32 s3, exec_lo
	v_cmpx_eq_u32_e32 1, v13
	s_cbranch_execz .LBB17_120
; %bb.117:
	s_waitcnt vmcnt(9)
	v_and_b32_e32 v13, 1, v21
	s_mov_b32 s4, exec_lo
	s_delay_alu instid0(VALU_DEP_1)
	v_cmpx_eq_u32_e32 1, v13
	s_cbranch_execz .LBB17_119
; %bb.118:
	s_waitcnt vmcnt(8)
	v_cmp_lt_f32_e32 vcc_lo, v9, v11
	v_dual_mov_b32 v22, 1 :: v_dual_cndmask_b32 v11, v11, v9
	v_cmp_lt_f32_e32 vcc_lo, v12, v10
	v_cndmask_b32_e32 v12, v12, v10, vcc_lo
.LBB17_119:
	s_or_b32 exec_lo, exec_lo, s4
	s_waitcnt vmcnt(8)
	s_delay_alu instid0(VALU_DEP_1)
	v_dual_mov_b32 v21, v22 :: v_dual_mov_b32 v10, v12
	v_mov_b32_e32 v9, v11
.LBB17_120:
	s_or_b32 exec_lo, exec_lo, s3
	s_waitcnt vmcnt(9)
	s_delay_alu instid0(VALU_DEP_2) | instskip(SKIP_1) | instid1(VALU_DEP_1)
	v_and_b32_e32 v11, 1, v21
	s_mov_b32 s3, exec_lo
	v_cmpx_eq_u32_e32 1, v11
	s_cbranch_execz .LBB17_124
; %bb.121:
	s_waitcnt vmcnt(7)
	v_and_b32_e32 v11, 1, v20
	s_mov_b32 s4, exec_lo
	s_delay_alu instid0(VALU_DEP_1)
	v_cmpx_eq_u32_e32 1, v11
	s_cbranch_execz .LBB17_123
; %bb.122:
	s_waitcnt vmcnt(6)
	v_cmp_lt_f32_e32 vcc_lo, v7, v9
	v_mov_b32_e32 v21, 1
	v_cndmask_b32_e32 v9, v9, v7, vcc_lo
	v_cmp_lt_f32_e32 vcc_lo, v10, v8
	v_cndmask_b32_e32 v10, v10, v8, vcc_lo
.LBB17_123:
	s_or_b32 exec_lo, exec_lo, s4
	v_mov_b32_e32 v20, v21
	s_waitcnt vmcnt(6)
	s_delay_alu instid0(VALU_DEP_2)
	v_dual_mov_b32 v7, v9 :: v_dual_mov_b32 v8, v10
.LBB17_124:
	s_or_b32 exec_lo, exec_lo, s3
	s_waitcnt vmcnt(7)
	v_and_b32_e32 v9, 1, v20
	s_mov_b32 s3, exec_lo
	s_delay_alu instid0(VALU_DEP_1)
	v_cmpx_eq_u32_e32 1, v9
	s_cbranch_execz .LBB17_128
; %bb.125:
	s_waitcnt vmcnt(5)
	v_and_b32_e32 v9, 1, v19
	s_mov_b32 s4, exec_lo
	s_delay_alu instid0(VALU_DEP_1)
	v_cmpx_eq_u32_e32 1, v9
	s_cbranch_execz .LBB17_127
; %bb.126:
	s_waitcnt vmcnt(4)
	v_cmp_lt_f32_e32 vcc_lo, v5, v7
	v_dual_mov_b32 v20, 1 :: v_dual_cndmask_b32 v7, v7, v5
	v_cmp_lt_f32_e32 vcc_lo, v8, v6
	v_cndmask_b32_e32 v8, v8, v6, vcc_lo
.LBB17_127:
	s_or_b32 exec_lo, exec_lo, s4
	s_delay_alu instid0(VALU_DEP_3) | instskip(SKIP_1) | instid1(VALU_DEP_2)
	v_mov_b32_e32 v19, v20
	s_waitcnt vmcnt(4)
	v_dual_mov_b32 v5, v7 :: v_dual_mov_b32 v6, v8
.LBB17_128:
	s_or_b32 exec_lo, exec_lo, s3
	s_waitcnt vmcnt(5)
	v_and_b32_e32 v7, 1, v19
	s_mov_b32 s3, exec_lo
	s_delay_alu instid0(VALU_DEP_1)
	v_cmpx_eq_u32_e32 1, v7
	s_cbranch_execz .LBB17_132
; %bb.129:
	s_waitcnt vmcnt(3)
	v_and_b32_e32 v7, 1, v18
	s_mov_b32 s4, exec_lo
	s_delay_alu instid0(VALU_DEP_1)
	v_cmpx_eq_u32_e32 1, v7
	s_cbranch_execz .LBB17_131
; %bb.130:
	s_waitcnt vmcnt(2)
	v_cmp_lt_f32_e32 vcc_lo, v3, v5
	v_mov_b32_e32 v19, 1
	v_cndmask_b32_e32 v5, v5, v3, vcc_lo
	v_cmp_lt_f32_e32 vcc_lo, v6, v4
	v_cndmask_b32_e32 v6, v6, v4, vcc_lo
.LBB17_131:
	s_or_b32 exec_lo, exec_lo, s4
	s_waitcnt vmcnt(2)
	v_dual_mov_b32 v18, v19 :: v_dual_mov_b32 v3, v5
	s_delay_alu instid0(VALU_DEP_2)
	v_mov_b32_e32 v4, v6
.LBB17_132:
	s_or_b32 exec_lo, exec_lo, s3
	s_waitcnt vmcnt(3)
	s_delay_alu instid0(VALU_DEP_2) | instskip(SKIP_1) | instid1(VALU_DEP_1)
	v_and_b32_e32 v5, 1, v18
	s_mov_b32 s3, exec_lo
	v_cmpx_eq_u32_e32 1, v5
	s_cbranch_execz .LBB17_136
; %bb.133:
	s_waitcnt vmcnt(1)
	v_and_b32_e32 v5, 1, v17
	s_mov_b32 s4, exec_lo
	s_delay_alu instid0(VALU_DEP_1)
	v_cmpx_eq_u32_e32 1, v5
	s_cbranch_execz .LBB17_135
; %bb.134:
	s_waitcnt vmcnt(0)
	v_cmp_lt_f32_e32 vcc_lo, v1, v3
	v_dual_mov_b32 v18, 1 :: v_dual_cndmask_b32 v3, v3, v1
	v_cmp_lt_f32_e32 vcc_lo, v4, v2
	v_cndmask_b32_e32 v4, v4, v2, vcc_lo
.LBB17_135:
	s_or_b32 exec_lo, exec_lo, s4
	s_waitcnt vmcnt(0)
	s_delay_alu instid0(VALU_DEP_1)
	v_dual_mov_b32 v17, v18 :: v_dual_mov_b32 v2, v4
	v_mov_b32_e32 v1, v3
.LBB17_136:
	s_or_b32 exec_lo, exec_lo, s3
	s_waitcnt vmcnt(1)
	s_delay_alu instid0(VALU_DEP_2) | instskip(SKIP_3) | instid1(VALU_DEP_2)
	v_and_b32_e32 v3, 0xff, v17
	s_waitcnt vmcnt(0)
	v_mov_b32_dpp v4, v1 quad_perm:[1,0,3,2] row_mask:0xf bank_mask:0xf
	s_mov_b32 s3, exec_lo
	v_mov_b32_dpp v5, v3 quad_perm:[1,0,3,2] row_mask:0xf bank_mask:0xf
	v_mov_b32_dpp v3, v2 quad_perm:[1,0,3,2] row_mask:0xf bank_mask:0xf
	s_delay_alu instid0(VALU_DEP_2) | instskip(NEXT) | instid1(VALU_DEP_1)
	v_and_b32_e32 v6, 1, v5
	v_cmpx_eq_u32_e32 1, v6
	s_xor_b32 s3, exec_lo, s3
	s_cbranch_execz .LBB17_140
; %bb.137:
	v_and_b32_e32 v6, 1, v17
	s_mov_b32 s4, exec_lo
	s_delay_alu instid0(VALU_DEP_1)
	v_cmpx_eq_u32_e32 1, v6
; %bb.138:
	v_cmp_gt_f32_e32 vcc_lo, v2, v3
	v_mov_b32_e32 v5, 1
	v_cndmask_b32_e32 v3, v3, v2, vcc_lo
	v_cmp_lt_f32_e32 vcc_lo, v1, v4
	v_cndmask_b32_e32 v4, v4, v1, vcc_lo
; %bb.139:
	s_or_b32 exec_lo, exec_lo, s4
	s_delay_alu instid0(VALU_DEP_3) | instskip(NEXT) | instid1(VALU_DEP_2)
	v_dual_mov_b32 v17, v5 :: v_dual_mov_b32 v2, v3
	v_mov_b32_e32 v1, v4
.LBB17_140:
	s_or_b32 exec_lo, exec_lo, s3
	s_delay_alu instid0(VALU_DEP_2) | instskip(NEXT) | instid1(VALU_DEP_2)
	v_and_b32_e32 v3, 0xff, v17
	v_mov_b32_dpp v4, v1 quad_perm:[2,3,0,1] row_mask:0xf bank_mask:0xf
	s_mov_b32 s3, exec_lo
	s_delay_alu instid0(VALU_DEP_2) | instskip(SKIP_1) | instid1(VALU_DEP_2)
	v_mov_b32_dpp v5, v3 quad_perm:[2,3,0,1] row_mask:0xf bank_mask:0xf
	v_mov_b32_dpp v3, v2 quad_perm:[2,3,0,1] row_mask:0xf bank_mask:0xf
	v_and_b32_e32 v6, 1, v5
	s_delay_alu instid0(VALU_DEP_1)
	v_cmpx_eq_u32_e32 1, v6
	s_cbranch_execz .LBB17_144
; %bb.141:
	v_and_b32_e32 v6, 1, v17
	s_mov_b32 s4, exec_lo
	s_delay_alu instid0(VALU_DEP_1)
	v_cmpx_eq_u32_e32 1, v6
; %bb.142:
	v_cmp_gt_f32_e32 vcc_lo, v2, v3
	v_mov_b32_e32 v5, 1
	v_cndmask_b32_e32 v3, v3, v2, vcc_lo
	v_cmp_lt_f32_e32 vcc_lo, v1, v4
	v_cndmask_b32_e32 v4, v4, v1, vcc_lo
; %bb.143:
	s_or_b32 exec_lo, exec_lo, s4
	s_delay_alu instid0(VALU_DEP_3) | instskip(NEXT) | instid1(VALU_DEP_2)
	v_dual_mov_b32 v17, v5 :: v_dual_mov_b32 v2, v3
	v_mov_b32_e32 v1, v4
.LBB17_144:
	s_or_b32 exec_lo, exec_lo, s3
	s_delay_alu instid0(VALU_DEP_2) | instskip(NEXT) | instid1(VALU_DEP_2)
	v_and_b32_e32 v3, 0xff, v17
	v_mov_b32_dpp v4, v1 row_ror:4 row_mask:0xf bank_mask:0xf
	s_mov_b32 s3, exec_lo
	s_delay_alu instid0(VALU_DEP_2) | instskip(SKIP_1) | instid1(VALU_DEP_2)
	v_mov_b32_dpp v5, v3 row_ror:4 row_mask:0xf bank_mask:0xf
	v_mov_b32_dpp v3, v2 row_ror:4 row_mask:0xf bank_mask:0xf
	v_and_b32_e32 v6, 1, v5
	s_delay_alu instid0(VALU_DEP_1)
	v_cmpx_eq_u32_e32 1, v6
	s_cbranch_execz .LBB17_148
; %bb.145:
	v_and_b32_e32 v6, 1, v17
	s_mov_b32 s4, exec_lo
	s_delay_alu instid0(VALU_DEP_1)
	v_cmpx_eq_u32_e32 1, v6
; %bb.146:
	v_cmp_gt_f32_e32 vcc_lo, v2, v3
	v_mov_b32_e32 v5, 1
	v_cndmask_b32_e32 v3, v3, v2, vcc_lo
	v_cmp_lt_f32_e32 vcc_lo, v1, v4
	v_cndmask_b32_e32 v4, v4, v1, vcc_lo
; %bb.147:
	s_or_b32 exec_lo, exec_lo, s4
	s_delay_alu instid0(VALU_DEP_3) | instskip(NEXT) | instid1(VALU_DEP_2)
	v_dual_mov_b32 v17, v5 :: v_dual_mov_b32 v2, v3
	v_mov_b32_e32 v1, v4
.LBB17_148:
	s_or_b32 exec_lo, exec_lo, s3
	s_delay_alu instid0(VALU_DEP_2) | instskip(NEXT) | instid1(VALU_DEP_2)
	v_and_b32_e32 v3, 0xff, v17
	v_mov_b32_dpp v4, v1 row_ror:8 row_mask:0xf bank_mask:0xf
	s_mov_b32 s3, exec_lo
	s_delay_alu instid0(VALU_DEP_2) | instskip(SKIP_1) | instid1(VALU_DEP_2)
	v_mov_b32_dpp v5, v3 row_ror:8 row_mask:0xf bank_mask:0xf
	v_mov_b32_dpp v3, v2 row_ror:8 row_mask:0xf bank_mask:0xf
	v_and_b32_e32 v6, 1, v5
	s_delay_alu instid0(VALU_DEP_1)
	v_cmpx_eq_u32_e32 1, v6
	s_cbranch_execz .LBB17_152
; %bb.149:
	v_and_b32_e32 v6, 1, v17
	s_mov_b32 s4, exec_lo
	s_delay_alu instid0(VALU_DEP_1)
	v_cmpx_eq_u32_e32 1, v6
; %bb.150:
	v_cmp_gt_f32_e32 vcc_lo, v2, v3
	v_mov_b32_e32 v5, 1
	v_cndmask_b32_e32 v3, v3, v2, vcc_lo
	v_cmp_lt_f32_e32 vcc_lo, v1, v4
	v_cndmask_b32_e32 v4, v4, v1, vcc_lo
; %bb.151:
	s_or_b32 exec_lo, exec_lo, s4
	s_delay_alu instid0(VALU_DEP_3) | instskip(NEXT) | instid1(VALU_DEP_2)
	v_dual_mov_b32 v17, v5 :: v_dual_mov_b32 v2, v3
	v_mov_b32_e32 v1, v4
.LBB17_152:
	s_or_b32 exec_lo, exec_lo, s3
	s_delay_alu instid0(VALU_DEP_2)
	v_and_b32_e32 v3, 0xff, v17
	ds_swizzle_b32 v4, v1 offset:swizzle(BROADCAST,32,15)
	s_mov_b32 s3, exec_lo
	ds_swizzle_b32 v5, v3 offset:swizzle(BROADCAST,32,15)
	ds_swizzle_b32 v3, v2 offset:swizzle(BROADCAST,32,15)
	s_waitcnt lgkmcnt(1)
	v_and_b32_e32 v6, 1, v5
	s_delay_alu instid0(VALU_DEP_1)
	v_cmpx_eq_u32_e32 1, v6
	s_cbranch_execz .LBB17_156
; %bb.153:
	v_and_b32_e32 v6, 1, v17
	s_mov_b32 s4, exec_lo
	s_delay_alu instid0(VALU_DEP_1)
	v_cmpx_eq_u32_e32 1, v6
	s_cbranch_execz .LBB17_155
; %bb.154:
	s_waitcnt lgkmcnt(0)
	v_cmp_gt_f32_e32 vcc_lo, v2, v3
	v_mov_b32_e32 v5, 1
	v_cndmask_b32_e32 v3, v3, v2, vcc_lo
	v_cmp_lt_f32_e32 vcc_lo, v1, v4
	v_cndmask_b32_e32 v4, v4, v1, vcc_lo
.LBB17_155:
	s_or_b32 exec_lo, exec_lo, s4
	s_waitcnt lgkmcnt(0)
	v_dual_mov_b32 v17, v5 :: v_dual_mov_b32 v2, v3
	s_delay_alu instid0(VALU_DEP_2)
	v_mov_b32_e32 v1, v4
.LBB17_156:
	s_or_b32 exec_lo, exec_lo, s3
	s_waitcnt lgkmcnt(0)
	s_delay_alu instid0(VALU_DEP_2)
	v_dual_mov_b32 v4, 0 :: v_dual_and_b32 v3, 0xff, v17
	s_mov_b32 s3, exec_lo
	ds_bpermute_b32 v5, v4, v3 offset:124
	ds_bpermute_b32 v1, v4, v1 offset:124
	;; [unrolled: 1-line block ×3, first 2 shown]
	v_mbcnt_lo_u32_b32 v3, -1, 0
	s_delay_alu instid0(VALU_DEP_1)
	v_cmpx_eq_u32_e32 0, v3
	s_cbranch_execz .LBB17_158
; %bb.157:
	v_lshrrev_b32_e32 v4, 5, v0
	s_delay_alu instid0(VALU_DEP_1)
	v_mul_u32_u24_e32 v4, 12, v4
	s_waitcnt lgkmcnt(2)
	ds_store_b8 v4, v5 offset:480
	s_waitcnt lgkmcnt(1)
	ds_store_2addr_b32 v4, v1, v2 offset0:121 offset1:122
.LBB17_158:
	s_or_b32 exec_lo, exec_lo, s3
	s_delay_alu instid0(SALU_CYCLE_1)
	s_mov_b32 s3, exec_lo
	s_waitcnt lgkmcnt(0)
	s_barrier
	buffer_gl0_inv
	v_cmpx_gt_u32_e32 32, v0
	s_cbranch_execz .LBB17_172
; %bb.159:
	v_and_b32_e32 v4, 7, v3
	s_mov_b32 s4, exec_lo
	s_delay_alu instid0(VALU_DEP_1) | instskip(SKIP_4) | instid1(VALU_DEP_1)
	v_mul_u32_u24_e32 v1, 12, v4
	v_cmp_ne_u32_e32 vcc_lo, 7, v4
	ds_load_u8 v7, v1 offset:480
	ds_load_2addr_b32 v[1:2], v1 offset0:121 offset1:122
	v_add_co_ci_u32_e32 v5, vcc_lo, 0, v3, vcc_lo
	v_lshlrev_b32_e32 v5, 2, v5
	s_waitcnt lgkmcnt(1)
	v_and_b32_e32 v8, 0xff, v7
	s_waitcnt lgkmcnt(0)
	ds_bpermute_b32 v6, v5, v1
	ds_bpermute_b32 v10, v5, v8
	;; [unrolled: 1-line block ×3, first 2 shown]
	v_and_b32_e32 v8, 1, v7
	s_delay_alu instid0(VALU_DEP_1)
	v_cmpx_eq_u32_e32 1, v8
	s_cbranch_execz .LBB17_163
; %bb.160:
	s_waitcnt lgkmcnt(1)
	v_and_b32_e32 v8, 1, v10
	s_mov_b32 s5, exec_lo
	s_delay_alu instid0(VALU_DEP_1)
	v_cmpx_eq_u32_e32 1, v8
	s_cbranch_execz .LBB17_162
; %bb.161:
	v_cmp_gt_f32_e32 vcc_lo, v1, v6
	v_mov_b32_e32 v7, 1
	v_cndmask_b32_e32 v1, v1, v6, vcc_lo
	s_waitcnt lgkmcnt(0)
	v_cmp_lt_f32_e32 vcc_lo, v2, v5
	v_cndmask_b32_e32 v2, v2, v5, vcc_lo
.LBB17_162:
	s_or_b32 exec_lo, exec_lo, s5
	s_waitcnt lgkmcnt(0)
	s_delay_alu instid0(VALU_DEP_1)
	v_dual_mov_b32 v10, v7 :: v_dual_mov_b32 v5, v2
	v_mov_b32_e32 v6, v1
.LBB17_163:
	s_or_b32 exec_lo, exec_lo, s4
	v_cmp_gt_u32_e32 vcc_lo, 6, v4
	s_waitcnt lgkmcnt(1)
	v_and_b32_e32 v2, 0xff, v10
	s_mov_b32 s4, exec_lo
	v_cndmask_b32_e64 v1, 0, 1, vcc_lo
	s_delay_alu instid0(VALU_DEP_1) | instskip(NEXT) | instid1(VALU_DEP_1)
	v_lshlrev_b32_e32 v1, 1, v1
	v_add_lshl_u32 v1, v1, v3, 2
	ds_bpermute_b32 v9, v1, v2
	ds_bpermute_b32 v8, v1, v6
	s_waitcnt lgkmcnt(2)
	ds_bpermute_b32 v7, v1, v5
	v_and_b32_e32 v1, 1, v10
	s_delay_alu instid0(VALU_DEP_1)
	v_cmpx_eq_u32_e32 1, v1
	s_cbranch_execz .LBB17_167
; %bb.164:
	s_waitcnt lgkmcnt(2)
	v_and_b32_e32 v1, 1, v9
	s_mov_b32 s5, exec_lo
	s_delay_alu instid0(VALU_DEP_1)
	v_cmpx_eq_u32_e32 1, v1
	s_cbranch_execz .LBB17_166
; %bb.165:
	s_waitcnt lgkmcnt(1)
	v_cmp_gt_f32_e32 vcc_lo, v6, v8
	v_mov_b32_e32 v10, 1
	v_cndmask_b32_e32 v6, v6, v8, vcc_lo
	s_waitcnt lgkmcnt(0)
	v_cmp_lt_f32_e32 vcc_lo, v5, v7
	v_cndmask_b32_e32 v5, v5, v7, vcc_lo
.LBB17_166:
	s_or_b32 exec_lo, exec_lo, s5
	v_mov_b32_e32 v9, v10
	s_waitcnt lgkmcnt(0)
	s_delay_alu instid0(VALU_DEP_2)
	v_dual_mov_b32 v8, v6 :: v_dual_mov_b32 v7, v5
.LBB17_167:
	s_or_b32 exec_lo, exec_lo, s4
	v_cmp_gt_u32_e32 vcc_lo, 4, v4
	s_waitcnt lgkmcnt(2)
	v_and_b32_e32 v2, 0xff, v9
	s_mov_b32 s4, exec_lo
	v_cndmask_b32_e64 v1, 0, 1, vcc_lo
	s_delay_alu instid0(VALU_DEP_1) | instskip(NEXT) | instid1(VALU_DEP_1)
	v_lshlrev_b32_e32 v1, 2, v1
	v_add_lshl_u32 v4, v1, v3, 2
	ds_bpermute_b32 v3, v4, v2
	s_waitcnt lgkmcnt(2)
	ds_bpermute_b32 v1, v4, v8
	s_waitcnt lgkmcnt(2)
	ds_bpermute_b32 v2, v4, v7
	v_and_b32_e32 v4, 1, v9
	s_delay_alu instid0(VALU_DEP_1)
	v_cmpx_eq_u32_e32 1, v4
	s_cbranch_execz .LBB17_171
; %bb.168:
	s_waitcnt lgkmcnt(2)
	v_and_b32_e32 v3, 1, v3
	s_mov_b32 s5, exec_lo
	s_delay_alu instid0(VALU_DEP_1)
	v_cmpx_eq_u32_e32 1, v3
	s_cbranch_execz .LBB17_170
; %bb.169:
	s_waitcnt lgkmcnt(1)
	v_cmp_gt_f32_e32 vcc_lo, v8, v1
	v_dual_mov_b32 v9, 1 :: v_dual_cndmask_b32 v8, v8, v1
	s_waitcnt lgkmcnt(0)
	v_cmp_lt_f32_e32 vcc_lo, v7, v2
	v_cndmask_b32_e32 v7, v7, v2, vcc_lo
.LBB17_170:
	s_or_b32 exec_lo, exec_lo, s5
	s_waitcnt lgkmcnt(0)
	s_delay_alu instid0(VALU_DEP_1)
	v_dual_mov_b32 v3, v9 :: v_dual_mov_b32 v2, v7
	v_mov_b32_e32 v1, v8
.LBB17_171:
	s_or_b32 exec_lo, exec_lo, s4
	s_waitcnt lgkmcnt(2)
	s_delay_alu instid0(VALU_DEP_2)
	v_and_b32_e32 v5, 0xff, v3
.LBB17_172:
	s_or_b32 exec_lo, exec_lo, s3
	s_mov_b32 s3, 0
	s_branch .LBB17_223
.LBB17_173:
                                        ; implicit-def: $vgpr4
                                        ; implicit-def: $vgpr6
	s_branch .LBB17_531
.LBB17_174:
	s_mov_b32 s3, -1
                                        ; implicit-def: $vgpr2
                                        ; implicit-def: $vgpr5
.LBB17_175:
	s_delay_alu instid0(SALU_CYCLE_1)
	s_and_b32 vcc_lo, exec_lo, s3
	s_cbranch_vccz .LBB17_375
; %bb.176:
	s_waitcnt lgkmcnt(0)
	v_dual_mov_b32 v2, 0 :: v_dual_mov_b32 v1, 0
	v_dual_mov_b32 v32, 0 :: v_dual_mov_b32 v33, 0
	s_sub_i32 s29, s18, s2
	s_mov_b32 s2, exec_lo
	v_cmpx_gt_u32_e64 s29, v0
; %bb.177:
	v_mad_u64_u32 v[1:2], null, v0, 12, s[24:25]
	s_clause 0x1
	global_load_u8 v33, v[1:2], off
	global_load_b64 v[1:2], v[1:2], off offset:4
; %bb.178:
	s_or_b32 exec_lo, exec_lo, s2
	v_or_b32_e32 v3, 0x100, v0
	v_dual_mov_b32 v31, 0 :: v_dual_mov_b32 v48, 0
	s_delay_alu instid0(VALU_DEP_2) | instskip(NEXT) | instid1(VALU_DEP_1)
	v_cmp_gt_u32_e64 s15, s29, v3
	s_and_saveexec_b32 s2, s15
; %bb.179:
	v_mad_u64_u32 v[3:4], null, v0, 12, s[24:25]
	s_clause 0x1
	global_load_u8 v48, v[3:4], off offset:3072
	global_load_b64 v[31:32], v[3:4], off offset:3076
; %bb.180:
	s_or_b32 exec_lo, exec_lo, s2
	v_or_b32_e32 v3, 0x200, v0
	v_dual_mov_b32 v30, 0 :: v_dual_mov_b32 v29, 0
	v_dual_mov_b32 v28, 0 :: v_dual_mov_b32 v47, 0
	s_delay_alu instid0(VALU_DEP_3) | instskip(NEXT) | instid1(VALU_DEP_1)
	v_cmp_gt_u32_e64 s14, s29, v3
	s_and_saveexec_b32 s2, s14
; %bb.181:
	v_mad_u64_u32 v[4:5], null, v3, 12, s[24:25]
	s_clause 0x1
	global_load_u8 v47, v[4:5], off
	global_load_b64 v[29:30], v[4:5], off offset:4
; %bb.182:
	s_or_b32 exec_lo, exec_lo, s2
	v_or_b32_e32 v3, 0x300, v0
	v_dual_mov_b32 v27, 0 :: v_dual_mov_b32 v46, 0
	s_delay_alu instid0(VALU_DEP_2) | instskip(NEXT) | instid1(VALU_DEP_1)
	v_cmp_gt_u32_e64 s13, s29, v3
	s_and_saveexec_b32 s2, s13
; %bb.183:
	v_mad_u64_u32 v[4:5], null, v3, 12, s[24:25]
	s_clause 0x1
	global_load_u8 v46, v[4:5], off
	global_load_b64 v[27:28], v[4:5], off offset:4
; %bb.184:
	s_or_b32 exec_lo, exec_lo, s2
	v_or_b32_e32 v3, 0x400, v0
	v_dual_mov_b32 v26, 0 :: v_dual_mov_b32 v25, 0
	v_dual_mov_b32 v24, 0 :: v_dual_mov_b32 v45, 0
	s_delay_alu instid0(VALU_DEP_3) | instskip(NEXT) | instid1(VALU_DEP_1)
	v_cmp_gt_u32_e64 s12, s29, v3
	s_and_saveexec_b32 s2, s12
; %bb.185:
	v_mad_u64_u32 v[4:5], null, v3, 12, s[24:25]
	s_clause 0x1
	global_load_u8 v45, v[4:5], off
	global_load_b64 v[25:26], v[4:5], off offset:4
; %bb.186:
	s_or_b32 exec_lo, exec_lo, s2
	v_or_b32_e32 v3, 0x500, v0
	v_dual_mov_b32 v23, 0 :: v_dual_mov_b32 v44, 0
	s_delay_alu instid0(VALU_DEP_2) | instskip(NEXT) | instid1(VALU_DEP_1)
	v_cmp_gt_u32_e64 s11, s29, v3
	s_and_saveexec_b32 s2, s11
; %bb.187:
	v_mad_u64_u32 v[4:5], null, v3, 12, s[24:25]
	s_clause 0x1
	global_load_u8 v44, v[4:5], off
	;; [unrolled: 25-line block ×5, first 2 shown]
	global_load_b64 v[11:12], v[4:5], off offset:4
; %bb.200:
	s_or_b32 exec_lo, exec_lo, s2
	v_or_b32_e32 v3, 0xc00, v0
	v_dual_mov_b32 v36, 0 :: v_dual_mov_b32 v7, 0
	v_dual_mov_b32 v37, 0 :: v_dual_mov_b32 v10, 0
	v_mov_b32_e32 v9, 0
	s_delay_alu instid0(VALU_DEP_4) | instskip(NEXT) | instid1(VALU_DEP_1)
	v_cmp_gt_u32_e64 s4, s29, v3
	s_and_saveexec_b32 s2, s4
; %bb.201:
	v_mad_u64_u32 v[4:5], null, v3, 12, s[24:25]
	s_clause 0x1
	global_load_u8 v37, v[4:5], off
	global_load_b64 v[9:10], v[4:5], off offset:4
; %bb.202:
	s_or_b32 exec_lo, exec_lo, s2
	v_or_b32_e32 v3, 0xd00, v0
	v_mov_b32_e32 v8, 0
	s_delay_alu instid0(VALU_DEP_2) | instskip(NEXT) | instid1(VALU_DEP_1)
	v_cmp_gt_u32_e64 s3, s29, v3
	s_and_saveexec_b32 s2, s3
; %bb.203:
	v_mad_u64_u32 v[4:5], null, v3, 12, s[24:25]
	s_clause 0x1
	global_load_u8 v36, v[4:5], off
	global_load_b64 v[7:8], v[4:5], off offset:4
; %bb.204:
	s_or_b32 exec_lo, exec_lo, s2
	v_or_b32_e32 v4, 0xe00, v0
	v_dual_mov_b32 v34, 0 :: v_dual_mov_b32 v3, 0
	v_dual_mov_b32 v35, 0 :: v_dual_mov_b32 v6, 0
	v_mov_b32_e32 v5, 0
	s_delay_alu instid0(VALU_DEP_4) | instskip(NEXT) | instid1(VALU_DEP_1)
	v_cmp_gt_u32_e64 s2, s29, v4
	s_and_saveexec_b32 s30, s2
; %bb.205:
	v_mad_u64_u32 v[5:6], null, v4, 12, s[24:25]
	s_clause 0x1
	global_load_u8 v35, v[5:6], off
	global_load_b64 v[5:6], v[5:6], off offset:4
; %bb.206:
	s_or_b32 exec_lo, exec_lo, s30
	v_or_b32_e32 v49, 0xf00, v0
	v_mov_b32_e32 v4, 0
	s_delay_alu instid0(VALU_DEP_2)
	v_cmp_gt_u32_e32 vcc_lo, s29, v49
	s_and_saveexec_b32 s30, vcc_lo
	s_cbranch_execnz .LBB17_246
; %bb.207:
	s_or_b32 exec_lo, exec_lo, s30
	s_and_saveexec_b32 s24, s15
	s_cbranch_execnz .LBB17_247
.LBB17_208:
	s_or_b32 exec_lo, exec_lo, s24
	s_and_saveexec_b32 s15, s14
	s_cbranch_execnz .LBB17_252
.LBB17_209:
	s_or_b32 exec_lo, exec_lo, s15
	s_and_saveexec_b32 s14, s13
	s_cbranch_execnz .LBB17_257
.LBB17_210:
	s_or_b32 exec_lo, exec_lo, s14
	s_and_saveexec_b32 s13, s12
	s_cbranch_execnz .LBB17_262
.LBB17_211:
	s_or_b32 exec_lo, exec_lo, s13
	s_and_saveexec_b32 s12, s11
	s_cbranch_execnz .LBB17_267
.LBB17_212:
	s_or_b32 exec_lo, exec_lo, s12
	s_and_saveexec_b32 s11, s10
	s_cbranch_execnz .LBB17_272
.LBB17_213:
	s_or_b32 exec_lo, exec_lo, s11
	s_and_saveexec_b32 s10, s9
	s_cbranch_execnz .LBB17_277
.LBB17_214:
	s_or_b32 exec_lo, exec_lo, s10
	s_and_saveexec_b32 s9, s8
	s_cbranch_execnz .LBB17_282
.LBB17_215:
	s_or_b32 exec_lo, exec_lo, s9
	s_and_saveexec_b32 s8, s7
	s_cbranch_execnz .LBB17_287
.LBB17_216:
	s_or_b32 exec_lo, exec_lo, s8
	s_and_saveexec_b32 s7, s6
	s_cbranch_execnz .LBB17_292
.LBB17_217:
	s_or_b32 exec_lo, exec_lo, s7
	s_and_saveexec_b32 s6, s5
	s_cbranch_execnz .LBB17_297
.LBB17_218:
	s_or_b32 exec_lo, exec_lo, s6
	s_and_saveexec_b32 s5, s4
	s_cbranch_execnz .LBB17_302
.LBB17_219:
	s_or_b32 exec_lo, exec_lo, s5
	s_and_saveexec_b32 s4, s3
	s_cbranch_execnz .LBB17_307
.LBB17_220:
	s_or_b32 exec_lo, exec_lo, s4
	s_and_saveexec_b32 s3, s2
	s_cbranch_execnz .LBB17_312
.LBB17_221:
	s_or_b32 exec_lo, exec_lo, s3
	s_and_saveexec_b32 s2, vcc_lo
	s_cbranch_execnz .LBB17_317
	s_branch .LBB17_322
.LBB17_222:
	s_mov_b32 s3, -1
                                        ; implicit-def: $vgpr2
                                        ; implicit-def: $vgpr5
.LBB17_223:
	s_delay_alu instid0(SALU_CYCLE_1)
	s_and_b32 vcc_lo, exec_lo, s3
	s_cbranch_vccz .LBB17_472
; %bb.224:
	s_waitcnt lgkmcnt(0)
	v_dual_mov_b32 v2, 0 :: v_dual_mov_b32 v1, 0
	v_dual_mov_b32 v16, 0 :: v_dual_mov_b32 v17, 0
	s_sub_i32 s11, s18, s2
	s_mov_b32 s2, exec_lo
	v_cmpx_gt_u32_e64 s11, v0
; %bb.225:
	v_mad_u64_u32 v[1:2], null, v0, 12, s[8:9]
	s_clause 0x1
	global_load_u8 v17, v[1:2], off
	global_load_b64 v[1:2], v[1:2], off offset:4
; %bb.226:
	s_or_b32 exec_lo, exec_lo, s2
	v_or_b32_e32 v3, 0x100, v0
	v_dual_mov_b32 v15, 0 :: v_dual_mov_b32 v24, 0
	s_delay_alu instid0(VALU_DEP_2) | instskip(NEXT) | instid1(VALU_DEP_1)
	v_cmp_gt_u32_e64 s7, s11, v3
	s_and_saveexec_b32 s2, s7
; %bb.227:
	v_mad_u64_u32 v[3:4], null, v0, 12, s[8:9]
	s_clause 0x1
	global_load_u8 v24, v[3:4], off offset:3072
	global_load_b64 v[15:16], v[3:4], off offset:3076
; %bb.228:
	s_or_b32 exec_lo, exec_lo, s2
	v_or_b32_e32 v3, 0x200, v0
	v_dual_mov_b32 v14, 0 :: v_dual_mov_b32 v13, 0
	v_dual_mov_b32 v12, 0 :: v_dual_mov_b32 v23, 0
	s_delay_alu instid0(VALU_DEP_3) | instskip(NEXT) | instid1(VALU_DEP_1)
	v_cmp_gt_u32_e64 s6, s11, v3
	s_and_saveexec_b32 s2, s6
; %bb.229:
	v_mad_u64_u32 v[4:5], null, v3, 12, s[8:9]
	s_clause 0x1
	global_load_u8 v23, v[4:5], off
	global_load_b64 v[13:14], v[4:5], off offset:4
; %bb.230:
	s_or_b32 exec_lo, exec_lo, s2
	v_or_b32_e32 v3, 0x300, v0
	v_dual_mov_b32 v11, 0 :: v_dual_mov_b32 v22, 0
	s_delay_alu instid0(VALU_DEP_2) | instskip(NEXT) | instid1(VALU_DEP_1)
	v_cmp_gt_u32_e64 s5, s11, v3
	s_and_saveexec_b32 s2, s5
; %bb.231:
	v_mad_u64_u32 v[4:5], null, v3, 12, s[8:9]
	s_clause 0x1
	global_load_u8 v22, v[4:5], off
	global_load_b64 v[11:12], v[4:5], off offset:4
; %bb.232:
	s_or_b32 exec_lo, exec_lo, s2
	v_or_b32_e32 v3, 0x400, v0
	v_dual_mov_b32 v10, 0 :: v_dual_mov_b32 v9, 0
	v_dual_mov_b32 v8, 0 :: v_dual_mov_b32 v21, 0
	s_delay_alu instid0(VALU_DEP_3) | instskip(NEXT) | instid1(VALU_DEP_1)
	v_cmp_gt_u32_e64 s4, s11, v3
	s_and_saveexec_b32 s2, s4
; %bb.233:
	v_mad_u64_u32 v[4:5], null, v3, 12, s[8:9]
	s_clause 0x1
	global_load_u8 v21, v[4:5], off
	global_load_b64 v[9:10], v[4:5], off offset:4
; %bb.234:
	s_or_b32 exec_lo, exec_lo, s2
	v_or_b32_e32 v3, 0x500, v0
	v_dual_mov_b32 v7, 0 :: v_dual_mov_b32 v20, 0
	s_delay_alu instid0(VALU_DEP_2) | instskip(NEXT) | instid1(VALU_DEP_1)
	v_cmp_gt_u32_e64 s3, s11, v3
	s_and_saveexec_b32 s2, s3
; %bb.235:
	v_mad_u64_u32 v[4:5], null, v3, 12, s[8:9]
	s_clause 0x1
	global_load_u8 v20, v[4:5], off
	global_load_b64 v[7:8], v[4:5], off offset:4
; %bb.236:
	s_or_b32 exec_lo, exec_lo, s2
	v_or_b32_e32 v4, 0x600, v0
	v_dual_mov_b32 v18, 0 :: v_dual_mov_b32 v3, 0
	v_dual_mov_b32 v19, 0 :: v_dual_mov_b32 v6, 0
	v_mov_b32_e32 v5, 0
	s_delay_alu instid0(VALU_DEP_4) | instskip(NEXT) | instid1(VALU_DEP_1)
	v_cmp_gt_u32_e64 s2, s11, v4
	s_and_saveexec_b32 s12, s2
; %bb.237:
	v_mad_u64_u32 v[5:6], null, v4, 12, s[8:9]
	s_clause 0x1
	global_load_u8 v19, v[5:6], off
	global_load_b64 v[5:6], v[5:6], off offset:4
; %bb.238:
	s_or_b32 exec_lo, exec_lo, s12
	v_or_b32_e32 v25, 0x700, v0
	v_mov_b32_e32 v4, 0
	s_delay_alu instid0(VALU_DEP_2)
	v_cmp_gt_u32_e32 vcc_lo, s11, v25
	s_and_saveexec_b32 s12, vcc_lo
	s_cbranch_execnz .LBB17_383
; %bb.239:
	s_or_b32 exec_lo, exec_lo, s12
	s_and_saveexec_b32 s8, s7
	s_cbranch_execnz .LBB17_384
.LBB17_240:
	s_or_b32 exec_lo, exec_lo, s8
	s_and_saveexec_b32 s7, s6
	s_cbranch_execnz .LBB17_389
.LBB17_241:
	s_or_b32 exec_lo, exec_lo, s7
	s_and_saveexec_b32 s6, s5
	s_cbranch_execnz .LBB17_394
.LBB17_242:
	s_or_b32 exec_lo, exec_lo, s6
	s_and_saveexec_b32 s5, s4
	s_cbranch_execnz .LBB17_399
.LBB17_243:
	s_or_b32 exec_lo, exec_lo, s5
	s_and_saveexec_b32 s4, s3
	s_cbranch_execnz .LBB17_404
.LBB17_244:
	s_or_b32 exec_lo, exec_lo, s4
	s_and_saveexec_b32 s3, s2
	s_cbranch_execnz .LBB17_409
.LBB17_245:
	s_or_b32 exec_lo, exec_lo, s3
	s_and_saveexec_b32 s2, vcc_lo
	s_cbranch_execnz .LBB17_414
	s_branch .LBB17_419
.LBB17_246:
	v_mad_u64_u32 v[3:4], null, v49, 12, s[24:25]
	s_clause 0x1
	global_load_u8 v34, v[3:4], off
	global_load_b64 v[3:4], v[3:4], off offset:4
	s_or_b32 exec_lo, exec_lo, s30
	s_and_saveexec_b32 s24, s15
	s_cbranch_execz .LBB17_208
.LBB17_247:
	s_waitcnt vmcnt(1)
	v_and_b32_e32 v49, 1, v33
	s_mov_b32 s25, exec_lo
	s_delay_alu instid0(VALU_DEP_1)
	v_cmpx_eq_u32_e32 1, v49
	s_cbranch_execz .LBB17_251
; %bb.248:
	v_and_b32_e32 v48, 1, v48
	s_mov_b32 s30, exec_lo
	s_delay_alu instid0(VALU_DEP_1)
	v_cmpx_eq_u32_e32 1, v48
	s_cbranch_execz .LBB17_250
; %bb.249:
	s_waitcnt vmcnt(0)
	v_cmp_lt_f32_e64 s15, v2, v32
	v_mov_b32_e32 v33, 1
	s_delay_alu instid0(VALU_DEP_2) | instskip(SKIP_1) | instid1(VALU_DEP_1)
	v_cndmask_b32_e64 v2, v2, v32, s15
	v_cmp_lt_f32_e64 s15, v31, v1
	v_cndmask_b32_e64 v1, v1, v31, s15
.LBB17_250:
	s_or_b32 exec_lo, exec_lo, s30
	s_waitcnt vmcnt(0)
	s_delay_alu instid0(VALU_DEP_1)
	v_dual_mov_b32 v32, v2 :: v_dual_mov_b32 v31, v1
	v_mov_b32_e32 v48, v33
.LBB17_251:
	s_or_b32 exec_lo, exec_lo, s25
	s_delay_alu instid0(VALU_DEP_1)
	v_mov_b32_e32 v33, v48
	s_waitcnt vmcnt(0)
	v_dual_mov_b32 v1, v31 :: v_dual_mov_b32 v2, v32
	s_or_b32 exec_lo, exec_lo, s24
	s_and_saveexec_b32 s15, s14
	s_cbranch_execz .LBB17_209
.LBB17_252:
	s_waitcnt vmcnt(0)
	v_and_b32_e32 v31, 1, v33
	s_mov_b32 s24, exec_lo
	s_delay_alu instid0(VALU_DEP_1)
	v_cmpx_eq_u32_e32 1, v31
	s_cbranch_execz .LBB17_256
; %bb.253:
	v_and_b32_e32 v31, 1, v47
	s_mov_b32 s25, exec_lo
	s_delay_alu instid0(VALU_DEP_1)
	v_cmpx_eq_u32_e32 1, v31
; %bb.254:
	v_cmp_lt_f32_e64 s14, v2, v30
	v_mov_b32_e32 v33, 1
	s_delay_alu instid0(VALU_DEP_2) | instskip(SKIP_1) | instid1(VALU_DEP_1)
	v_cndmask_b32_e64 v2, v2, v30, s14
	v_cmp_lt_f32_e64 s14, v29, v1
	v_cndmask_b32_e64 v1, v1, v29, s14
; %bb.255:
	s_or_b32 exec_lo, exec_lo, s25
	s_delay_alu instid0(VALU_DEP_1)
	v_dual_mov_b32 v30, v2 :: v_dual_mov_b32 v29, v1
	v_mov_b32_e32 v47, v33
.LBB17_256:
	s_or_b32 exec_lo, exec_lo, s24
	s_delay_alu instid0(VALU_DEP_1) | instskip(NEXT) | instid1(VALU_DEP_3)
	v_dual_mov_b32 v33, v47 :: v_dual_mov_b32 v2, v30
	v_mov_b32_e32 v1, v29
	s_or_b32 exec_lo, exec_lo, s15
	s_and_saveexec_b32 s14, s13
	s_cbranch_execz .LBB17_210
.LBB17_257:
	s_waitcnt vmcnt(0)
	v_and_b32_e32 v29, 1, v33
	s_mov_b32 s15, exec_lo
	s_delay_alu instid0(VALU_DEP_1)
	v_cmpx_eq_u32_e32 1, v29
	s_cbranch_execz .LBB17_261
; %bb.258:
	v_and_b32_e32 v29, 1, v46
	s_mov_b32 s24, exec_lo
	s_delay_alu instid0(VALU_DEP_1)
	v_cmpx_eq_u32_e32 1, v29
; %bb.259:
	v_cmp_lt_f32_e64 s13, v2, v28
	v_mov_b32_e32 v33, 1
	s_delay_alu instid0(VALU_DEP_2) | instskip(SKIP_1) | instid1(VALU_DEP_1)
	v_cndmask_b32_e64 v2, v2, v28, s13
	v_cmp_lt_f32_e64 s13, v27, v1
	v_cndmask_b32_e64 v1, v1, v27, s13
; %bb.260:
	s_or_b32 exec_lo, exec_lo, s24
	s_delay_alu instid0(VALU_DEP_1)
	v_dual_mov_b32 v28, v2 :: v_dual_mov_b32 v27, v1
	v_mov_b32_e32 v46, v33
.LBB17_261:
	s_or_b32 exec_lo, exec_lo, s15
	s_delay_alu instid0(VALU_DEP_1) | instskip(NEXT) | instid1(VALU_DEP_3)
	v_dual_mov_b32 v33, v46 :: v_dual_mov_b32 v2, v28
	v_mov_b32_e32 v1, v27
	s_or_b32 exec_lo, exec_lo, s14
	s_and_saveexec_b32 s13, s12
	s_cbranch_execz .LBB17_211
.LBB17_262:
	s_waitcnt vmcnt(0)
	v_and_b32_e32 v27, 1, v33
	s_mov_b32 s14, exec_lo
	s_delay_alu instid0(VALU_DEP_1)
	v_cmpx_eq_u32_e32 1, v27
	s_cbranch_execz .LBB17_266
; %bb.263:
	v_and_b32_e32 v27, 1, v45
	s_mov_b32 s15, exec_lo
	s_delay_alu instid0(VALU_DEP_1)
	v_cmpx_eq_u32_e32 1, v27
; %bb.264:
	v_cmp_lt_f32_e64 s12, v2, v26
	v_mov_b32_e32 v33, 1
	s_delay_alu instid0(VALU_DEP_2) | instskip(SKIP_1) | instid1(VALU_DEP_1)
	v_cndmask_b32_e64 v2, v2, v26, s12
	v_cmp_lt_f32_e64 s12, v25, v1
	v_cndmask_b32_e64 v1, v1, v25, s12
; %bb.265:
	s_or_b32 exec_lo, exec_lo, s15
	s_delay_alu instid0(VALU_DEP_1)
	v_dual_mov_b32 v26, v2 :: v_dual_mov_b32 v25, v1
	v_mov_b32_e32 v45, v33
.LBB17_266:
	s_or_b32 exec_lo, exec_lo, s14
	s_delay_alu instid0(VALU_DEP_1) | instskip(NEXT) | instid1(VALU_DEP_3)
	v_dual_mov_b32 v33, v45 :: v_dual_mov_b32 v2, v26
	v_mov_b32_e32 v1, v25
	s_or_b32 exec_lo, exec_lo, s13
	s_and_saveexec_b32 s12, s11
	s_cbranch_execz .LBB17_212
.LBB17_267:
	s_waitcnt vmcnt(0)
	v_and_b32_e32 v25, 1, v33
	s_mov_b32 s13, exec_lo
	s_delay_alu instid0(VALU_DEP_1)
	v_cmpx_eq_u32_e32 1, v25
	s_cbranch_execz .LBB17_271
; %bb.268:
	v_and_b32_e32 v25, 1, v44
	s_mov_b32 s14, exec_lo
	s_delay_alu instid0(VALU_DEP_1)
	v_cmpx_eq_u32_e32 1, v25
; %bb.269:
	v_cmp_lt_f32_e64 s11, v2, v24
	v_mov_b32_e32 v33, 1
	s_delay_alu instid0(VALU_DEP_2) | instskip(SKIP_1) | instid1(VALU_DEP_1)
	v_cndmask_b32_e64 v2, v2, v24, s11
	v_cmp_lt_f32_e64 s11, v23, v1
	v_cndmask_b32_e64 v1, v1, v23, s11
; %bb.270:
	s_or_b32 exec_lo, exec_lo, s14
	s_delay_alu instid0(VALU_DEP_1)
	v_dual_mov_b32 v24, v2 :: v_dual_mov_b32 v23, v1
	v_mov_b32_e32 v44, v33
.LBB17_271:
	s_or_b32 exec_lo, exec_lo, s13
	s_delay_alu instid0(VALU_DEP_1) | instskip(NEXT) | instid1(VALU_DEP_3)
	v_mov_b32_e32 v33, v44
	v_dual_mov_b32 v1, v23 :: v_dual_mov_b32 v2, v24
	s_or_b32 exec_lo, exec_lo, s12
	s_and_saveexec_b32 s11, s10
	s_cbranch_execz .LBB17_213
.LBB17_272:
	s_waitcnt vmcnt(0)
	v_and_b32_e32 v23, 1, v33
	s_mov_b32 s12, exec_lo
	s_delay_alu instid0(VALU_DEP_1)
	v_cmpx_eq_u32_e32 1, v23
	s_cbranch_execz .LBB17_276
; %bb.273:
	v_and_b32_e32 v23, 1, v43
	s_mov_b32 s13, exec_lo
	s_delay_alu instid0(VALU_DEP_1)
	v_cmpx_eq_u32_e32 1, v23
; %bb.274:
	v_cmp_lt_f32_e64 s10, v2, v22
	v_mov_b32_e32 v33, 1
	s_delay_alu instid0(VALU_DEP_2) | instskip(SKIP_1) | instid1(VALU_DEP_1)
	v_cndmask_b32_e64 v2, v2, v22, s10
	v_cmp_lt_f32_e64 s10, v21, v1
	v_cndmask_b32_e64 v1, v1, v21, s10
; %bb.275:
	s_or_b32 exec_lo, exec_lo, s13
	s_delay_alu instid0(VALU_DEP_1)
	v_dual_mov_b32 v22, v2 :: v_dual_mov_b32 v21, v1
	v_mov_b32_e32 v43, v33
.LBB17_276:
	s_or_b32 exec_lo, exec_lo, s12
	s_delay_alu instid0(VALU_DEP_1) | instskip(NEXT) | instid1(VALU_DEP_3)
	v_dual_mov_b32 v33, v43 :: v_dual_mov_b32 v2, v22
	v_mov_b32_e32 v1, v21
	s_or_b32 exec_lo, exec_lo, s11
	s_and_saveexec_b32 s10, s9
	s_cbranch_execz .LBB17_214
.LBB17_277:
	s_waitcnt vmcnt(0)
	v_and_b32_e32 v21, 1, v33
	s_mov_b32 s11, exec_lo
	s_delay_alu instid0(VALU_DEP_1)
	v_cmpx_eq_u32_e32 1, v21
	s_cbranch_execz .LBB17_281
; %bb.278:
	v_and_b32_e32 v21, 1, v42
	s_mov_b32 s12, exec_lo
	s_delay_alu instid0(VALU_DEP_1)
	v_cmpx_eq_u32_e32 1, v21
; %bb.279:
	v_cmp_lt_f32_e64 s9, v2, v20
	v_mov_b32_e32 v33, 1
	s_delay_alu instid0(VALU_DEP_2) | instskip(SKIP_1) | instid1(VALU_DEP_1)
	v_cndmask_b32_e64 v2, v2, v20, s9
	v_cmp_lt_f32_e64 s9, v19, v1
	v_cndmask_b32_e64 v1, v1, v19, s9
; %bb.280:
	s_or_b32 exec_lo, exec_lo, s12
	s_delay_alu instid0(VALU_DEP_1)
	v_dual_mov_b32 v20, v2 :: v_dual_mov_b32 v19, v1
	v_mov_b32_e32 v42, v33
.LBB17_281:
	s_or_b32 exec_lo, exec_lo, s11
	s_delay_alu instid0(VALU_DEP_1) | instskip(NEXT) | instid1(VALU_DEP_3)
	v_dual_mov_b32 v33, v42 :: v_dual_mov_b32 v2, v20
	v_mov_b32_e32 v1, v19
	s_or_b32 exec_lo, exec_lo, s10
	s_and_saveexec_b32 s9, s8
	s_cbranch_execz .LBB17_215
.LBB17_282:
	s_waitcnt vmcnt(0)
	v_and_b32_e32 v19, 1, v33
	s_mov_b32 s10, exec_lo
	s_delay_alu instid0(VALU_DEP_1)
	v_cmpx_eq_u32_e32 1, v19
	s_cbranch_execz .LBB17_286
; %bb.283:
	v_and_b32_e32 v19, 1, v41
	s_mov_b32 s11, exec_lo
	s_delay_alu instid0(VALU_DEP_1)
	v_cmpx_eq_u32_e32 1, v19
; %bb.284:
	v_cmp_lt_f32_e64 s8, v2, v18
	v_mov_b32_e32 v33, 1
	s_delay_alu instid0(VALU_DEP_2) | instskip(SKIP_1) | instid1(VALU_DEP_1)
	v_cndmask_b32_e64 v2, v2, v18, s8
	v_cmp_lt_f32_e64 s8, v17, v1
	v_cndmask_b32_e64 v1, v1, v17, s8
; %bb.285:
	s_or_b32 exec_lo, exec_lo, s11
	s_delay_alu instid0(VALU_DEP_1)
	v_dual_mov_b32 v18, v2 :: v_dual_mov_b32 v17, v1
	v_mov_b32_e32 v41, v33
.LBB17_286:
	s_or_b32 exec_lo, exec_lo, s10
	s_delay_alu instid0(VALU_DEP_1) | instskip(NEXT) | instid1(VALU_DEP_3)
	v_dual_mov_b32 v33, v41 :: v_dual_mov_b32 v2, v18
	v_mov_b32_e32 v1, v17
	s_or_b32 exec_lo, exec_lo, s9
	s_and_saveexec_b32 s8, s7
	s_cbranch_execz .LBB17_216
.LBB17_287:
	s_waitcnt vmcnt(0)
	v_and_b32_e32 v17, 1, v33
	s_mov_b32 s9, exec_lo
	s_delay_alu instid0(VALU_DEP_1)
	v_cmpx_eq_u32_e32 1, v17
	s_cbranch_execz .LBB17_291
; %bb.288:
	v_and_b32_e32 v17, 1, v40
	s_mov_b32 s10, exec_lo
	s_delay_alu instid0(VALU_DEP_1)
	v_cmpx_eq_u32_e32 1, v17
; %bb.289:
	v_cmp_lt_f32_e64 s7, v2, v16
	v_mov_b32_e32 v33, 1
	s_delay_alu instid0(VALU_DEP_2) | instskip(SKIP_1) | instid1(VALU_DEP_1)
	v_cndmask_b32_e64 v2, v2, v16, s7
	v_cmp_lt_f32_e64 s7, v15, v1
	v_cndmask_b32_e64 v1, v1, v15, s7
; %bb.290:
	s_or_b32 exec_lo, exec_lo, s10
	s_delay_alu instid0(VALU_DEP_1)
	v_dual_mov_b32 v16, v2 :: v_dual_mov_b32 v15, v1
	v_mov_b32_e32 v40, v33
.LBB17_291:
	s_or_b32 exec_lo, exec_lo, s9
	s_delay_alu instid0(VALU_DEP_1) | instskip(NEXT) | instid1(VALU_DEP_3)
	v_mov_b32_e32 v33, v40
	v_dual_mov_b32 v1, v15 :: v_dual_mov_b32 v2, v16
	s_or_b32 exec_lo, exec_lo, s8
	s_and_saveexec_b32 s7, s6
	s_cbranch_execz .LBB17_217
.LBB17_292:
	s_waitcnt vmcnt(0)
	v_and_b32_e32 v15, 1, v33
	s_mov_b32 s8, exec_lo
	s_delay_alu instid0(VALU_DEP_1)
	v_cmpx_eq_u32_e32 1, v15
	s_cbranch_execz .LBB17_296
; %bb.293:
	v_and_b32_e32 v15, 1, v39
	s_mov_b32 s9, exec_lo
	s_delay_alu instid0(VALU_DEP_1)
	v_cmpx_eq_u32_e32 1, v15
; %bb.294:
	v_cmp_lt_f32_e64 s6, v2, v14
	v_mov_b32_e32 v33, 1
	s_delay_alu instid0(VALU_DEP_2) | instskip(SKIP_1) | instid1(VALU_DEP_1)
	v_cndmask_b32_e64 v2, v2, v14, s6
	v_cmp_lt_f32_e64 s6, v13, v1
	v_cndmask_b32_e64 v1, v1, v13, s6
; %bb.295:
	s_or_b32 exec_lo, exec_lo, s9
	s_delay_alu instid0(VALU_DEP_1)
	v_dual_mov_b32 v14, v2 :: v_dual_mov_b32 v13, v1
	v_mov_b32_e32 v39, v33
.LBB17_296:
	s_or_b32 exec_lo, exec_lo, s8
	s_delay_alu instid0(VALU_DEP_1) | instskip(NEXT) | instid1(VALU_DEP_3)
	v_dual_mov_b32 v33, v39 :: v_dual_mov_b32 v2, v14
	v_mov_b32_e32 v1, v13
	s_or_b32 exec_lo, exec_lo, s7
	s_and_saveexec_b32 s6, s5
	s_cbranch_execz .LBB17_218
.LBB17_297:
	s_waitcnt vmcnt(0)
	v_and_b32_e32 v13, 1, v33
	s_mov_b32 s7, exec_lo
	s_delay_alu instid0(VALU_DEP_1)
	v_cmpx_eq_u32_e32 1, v13
	s_cbranch_execz .LBB17_301
; %bb.298:
	v_and_b32_e32 v13, 1, v38
	s_mov_b32 s8, exec_lo
	s_delay_alu instid0(VALU_DEP_1)
	v_cmpx_eq_u32_e32 1, v13
; %bb.299:
	v_cmp_lt_f32_e64 s5, v2, v12
	v_mov_b32_e32 v33, 1
	s_delay_alu instid0(VALU_DEP_2) | instskip(SKIP_1) | instid1(VALU_DEP_1)
	v_cndmask_b32_e64 v2, v2, v12, s5
	v_cmp_lt_f32_e64 s5, v11, v1
	v_cndmask_b32_e64 v1, v1, v11, s5
; %bb.300:
	s_or_b32 exec_lo, exec_lo, s8
	s_delay_alu instid0(VALU_DEP_1)
	v_dual_mov_b32 v12, v2 :: v_dual_mov_b32 v11, v1
	v_mov_b32_e32 v38, v33
.LBB17_301:
	s_or_b32 exec_lo, exec_lo, s7
	s_delay_alu instid0(VALU_DEP_1) | instskip(NEXT) | instid1(VALU_DEP_3)
	v_dual_mov_b32 v33, v38 :: v_dual_mov_b32 v2, v12
	v_mov_b32_e32 v1, v11
	s_or_b32 exec_lo, exec_lo, s6
	s_and_saveexec_b32 s5, s4
	s_cbranch_execz .LBB17_219
.LBB17_302:
	s_waitcnt vmcnt(0)
	v_and_b32_e32 v11, 1, v33
	s_mov_b32 s6, exec_lo
	s_delay_alu instid0(VALU_DEP_1)
	v_cmpx_eq_u32_e32 1, v11
	s_cbranch_execz .LBB17_306
; %bb.303:
	v_and_b32_e32 v11, 1, v37
	s_mov_b32 s7, exec_lo
	s_delay_alu instid0(VALU_DEP_1)
	v_cmpx_eq_u32_e32 1, v11
; %bb.304:
	v_cmp_lt_f32_e64 s4, v2, v10
	v_mov_b32_e32 v33, 1
	s_delay_alu instid0(VALU_DEP_2) | instskip(SKIP_1) | instid1(VALU_DEP_1)
	v_cndmask_b32_e64 v2, v2, v10, s4
	v_cmp_lt_f32_e64 s4, v9, v1
	v_cndmask_b32_e64 v1, v1, v9, s4
; %bb.305:
	s_or_b32 exec_lo, exec_lo, s7
	s_delay_alu instid0(VALU_DEP_1)
	v_dual_mov_b32 v10, v2 :: v_dual_mov_b32 v9, v1
	v_mov_b32_e32 v37, v33
.LBB17_306:
	s_or_b32 exec_lo, exec_lo, s6
	s_delay_alu instid0(VALU_DEP_1) | instskip(NEXT) | instid1(VALU_DEP_3)
	v_dual_mov_b32 v33, v37 :: v_dual_mov_b32 v2, v10
	v_mov_b32_e32 v1, v9
	s_or_b32 exec_lo, exec_lo, s5
	s_and_saveexec_b32 s4, s3
	s_cbranch_execz .LBB17_220
.LBB17_307:
	s_waitcnt vmcnt(0)
	v_and_b32_e32 v9, 1, v33
	s_mov_b32 s5, exec_lo
	s_delay_alu instid0(VALU_DEP_1)
	v_cmpx_eq_u32_e32 1, v9
	s_cbranch_execz .LBB17_311
; %bb.308:
	v_and_b32_e32 v9, 1, v36
	s_mov_b32 s6, exec_lo
	s_delay_alu instid0(VALU_DEP_1)
	v_cmpx_eq_u32_e32 1, v9
; %bb.309:
	v_cmp_lt_f32_e64 s3, v2, v8
	v_mov_b32_e32 v33, 1
	s_delay_alu instid0(VALU_DEP_2) | instskip(SKIP_1) | instid1(VALU_DEP_1)
	v_cndmask_b32_e64 v2, v2, v8, s3
	v_cmp_lt_f32_e64 s3, v7, v1
	v_cndmask_b32_e64 v1, v1, v7, s3
; %bb.310:
	s_or_b32 exec_lo, exec_lo, s6
	s_delay_alu instid0(VALU_DEP_1)
	v_dual_mov_b32 v8, v2 :: v_dual_mov_b32 v7, v1
	v_mov_b32_e32 v36, v33
.LBB17_311:
	s_or_b32 exec_lo, exec_lo, s5
	s_delay_alu instid0(VALU_DEP_1) | instskip(NEXT) | instid1(VALU_DEP_3)
	v_mov_b32_e32 v33, v36
	v_dual_mov_b32 v1, v7 :: v_dual_mov_b32 v2, v8
	s_or_b32 exec_lo, exec_lo, s4
	s_and_saveexec_b32 s3, s2
	s_cbranch_execz .LBB17_221
.LBB17_312:
	s_waitcnt vmcnt(0)
	v_and_b32_e32 v7, 1, v33
	s_mov_b32 s4, exec_lo
	s_delay_alu instid0(VALU_DEP_1)
	v_cmpx_eq_u32_e32 1, v7
	s_cbranch_execz .LBB17_316
; %bb.313:
	v_and_b32_e32 v7, 1, v35
	s_mov_b32 s5, exec_lo
	s_delay_alu instid0(VALU_DEP_1)
	v_cmpx_eq_u32_e32 1, v7
; %bb.314:
	v_cmp_lt_f32_e64 s2, v2, v6
	v_mov_b32_e32 v33, 1
	s_delay_alu instid0(VALU_DEP_2) | instskip(SKIP_1) | instid1(VALU_DEP_1)
	v_cndmask_b32_e64 v2, v2, v6, s2
	v_cmp_lt_f32_e64 s2, v5, v1
	v_cndmask_b32_e64 v1, v1, v5, s2
; %bb.315:
	s_or_b32 exec_lo, exec_lo, s5
	s_delay_alu instid0(VALU_DEP_1)
	v_dual_mov_b32 v6, v2 :: v_dual_mov_b32 v5, v1
	v_mov_b32_e32 v35, v33
.LBB17_316:
	s_or_b32 exec_lo, exec_lo, s4
	s_delay_alu instid0(VALU_DEP_1) | instskip(NEXT) | instid1(VALU_DEP_3)
	v_dual_mov_b32 v33, v35 :: v_dual_mov_b32 v2, v6
	v_mov_b32_e32 v1, v5
	s_or_b32 exec_lo, exec_lo, s3
	s_and_saveexec_b32 s2, vcc_lo
	s_cbranch_execz .LBB17_322
.LBB17_317:
	s_waitcnt vmcnt(0)
	v_and_b32_e32 v5, 1, v33
	s_mov_b32 s3, exec_lo
	s_delay_alu instid0(VALU_DEP_1)
	v_cmpx_eq_u32_e32 1, v5
	s_cbranch_execz .LBB17_321
; %bb.318:
	v_and_b32_e32 v5, 1, v34
	s_mov_b32 s4, exec_lo
	s_delay_alu instid0(VALU_DEP_1)
	v_cmpx_eq_u32_e32 1, v5
; %bb.319:
	v_cmp_lt_f32_e32 vcc_lo, v2, v4
	v_dual_mov_b32 v33, 1 :: v_dual_cndmask_b32 v2, v2, v4
	v_cmp_lt_f32_e32 vcc_lo, v3, v1
	v_cndmask_b32_e32 v1, v1, v3, vcc_lo
; %bb.320:
	s_or_b32 exec_lo, exec_lo, s4
	s_delay_alu instid0(VALU_DEP_1)
	v_dual_mov_b32 v4, v2 :: v_dual_mov_b32 v3, v1
	v_mov_b32_e32 v34, v33
.LBB17_321:
	s_or_b32 exec_lo, exec_lo, s3
	s_delay_alu instid0(VALU_DEP_1) | instskip(NEXT) | instid1(VALU_DEP_3)
	v_dual_mov_b32 v33, v34 :: v_dual_mov_b32 v2, v4
	v_mov_b32_e32 v1, v3
.LBB17_322:
	s_or_b32 exec_lo, exec_lo, s2
	s_waitcnt vmcnt(0)
	v_mbcnt_lo_u32_b32 v3, -1, 0
	v_and_b32_e32 v6, 0xff, v33
	s_min_u32 s2, s29, 0x100
	s_delay_alu instid0(VALU_DEP_2) | instskip(SKIP_2) | instid1(VALU_DEP_1)
	v_cmp_ne_u32_e32 vcc_lo, 31, v3
	v_add_nc_u32_e32 v5, 1, v3
	v_add_co_ci_u32_e32 v4, vcc_lo, 0, v3, vcc_lo
	v_lshlrev_b32_e32 v4, 2, v4
	ds_bpermute_b32 v9, v4, v6
	ds_bpermute_b32 v7, v4, v1
	;; [unrolled: 1-line block ×3, first 2 shown]
	v_and_b32_e32 v4, 0xe0, v0
	s_delay_alu instid0(VALU_DEP_1) | instskip(NEXT) | instid1(VALU_DEP_1)
	v_sub_nc_u32_e64 v4, s2, v4 clamp
	v_cmp_lt_u32_e32 vcc_lo, v5, v4
	v_mov_b32_e32 v5, v6
	s_and_saveexec_b32 s3, vcc_lo
	s_delay_alu instid0(SALU_CYCLE_1)
	s_xor_b32 s3, exec_lo, s3
	s_cbranch_execz .LBB17_328
; %bb.323:
	v_and_b32_e32 v5, 1, v33
	s_mov_b32 s4, exec_lo
	s_delay_alu instid0(VALU_DEP_1)
	v_cmpx_eq_u32_e32 1, v5
	s_cbranch_execz .LBB17_327
; %bb.324:
	s_waitcnt lgkmcnt(2)
	v_and_b32_e32 v5, 1, v9
	s_mov_b32 s5, exec_lo
	s_delay_alu instid0(VALU_DEP_1)
	v_cmpx_eq_u32_e32 1, v5
	s_cbranch_execz .LBB17_326
; %bb.325:
	s_waitcnt lgkmcnt(1)
	v_cmp_gt_f32_e32 vcc_lo, v1, v7
	v_dual_mov_b32 v6, 1 :: v_dual_cndmask_b32 v1, v1, v7
	s_waitcnt lgkmcnt(0)
	v_cmp_lt_f32_e32 vcc_lo, v2, v8
	v_cndmask_b32_e32 v2, v2, v8, vcc_lo
.LBB17_326:
	s_or_b32 exec_lo, exec_lo, s5
	v_mov_b32_e32 v9, v6
	s_waitcnt lgkmcnt(0)
	s_delay_alu instid0(VALU_DEP_2)
	v_dual_mov_b32 v7, v1 :: v_dual_mov_b32 v8, v2
.LBB17_327:
	s_or_b32 exec_lo, exec_lo, s4
	s_waitcnt lgkmcnt(0)
	s_delay_alu instid0(VALU_DEP_1) | instskip(NEXT) | instid1(VALU_DEP_2)
	v_dual_mov_b32 v2, v8 :: v_dual_and_b32 v5, 0xff, v9
	v_dual_mov_b32 v1, v7 :: v_dual_mov_b32 v6, v9
.LBB17_328:
	s_or_b32 exec_lo, exec_lo, s3
	v_cmp_gt_u32_e32 vcc_lo, 30, v3
	v_add_nc_u32_e32 v10, 2, v3
	s_mov_b32 s3, exec_lo
	s_waitcnt lgkmcnt(1)
	v_cndmask_b32_e64 v7, 0, 1, vcc_lo
	s_delay_alu instid0(VALU_DEP_1) | instskip(NEXT) | instid1(VALU_DEP_1)
	v_lshlrev_b32_e32 v7, 1, v7
	v_add_lshl_u32 v7, v7, v3, 2
	ds_bpermute_b32 v9, v7, v5
	s_waitcnt lgkmcnt(1)
	ds_bpermute_b32 v8, v7, v1
	ds_bpermute_b32 v7, v7, v2
	v_cmpx_lt_u32_e64 v10, v4
	s_cbranch_execz .LBB17_334
; %bb.329:
	v_and_b32_e32 v5, 1, v6
	s_mov_b32 s4, exec_lo
	s_delay_alu instid0(VALU_DEP_1)
	v_cmpx_eq_u32_e32 1, v5
	s_cbranch_execz .LBB17_333
; %bb.330:
	s_waitcnt lgkmcnt(2)
	v_and_b32_e32 v5, 1, v9
	s_mov_b32 s5, exec_lo
	s_delay_alu instid0(VALU_DEP_1)
	v_cmpx_eq_u32_e32 1, v5
	s_cbranch_execz .LBB17_332
; %bb.331:
	s_waitcnt lgkmcnt(1)
	v_cmp_gt_f32_e32 vcc_lo, v1, v8
	v_dual_mov_b32 v6, 1 :: v_dual_cndmask_b32 v1, v1, v8
	s_waitcnt lgkmcnt(0)
	v_cmp_lt_f32_e32 vcc_lo, v2, v7
	v_cndmask_b32_e32 v2, v2, v7, vcc_lo
.LBB17_332:
	s_or_b32 exec_lo, exec_lo, s5
	s_waitcnt lgkmcnt(1)
	v_dual_mov_b32 v9, v6 :: v_dual_mov_b32 v8, v1
	s_waitcnt lgkmcnt(0)
	v_mov_b32_e32 v7, v2
.LBB17_333:
	s_or_b32 exec_lo, exec_lo, s4
	s_waitcnt lgkmcnt(0)
	s_delay_alu instid0(VALU_DEP_1)
	v_dual_mov_b32 v2, v7 :: v_dual_and_b32 v5, 0xff, v9
	v_dual_mov_b32 v1, v8 :: v_dual_mov_b32 v6, v9
.LBB17_334:
	s_or_b32 exec_lo, exec_lo, s3
	v_cmp_gt_u32_e32 vcc_lo, 28, v3
	v_add_nc_u32_e32 v10, 4, v3
	s_mov_b32 s3, exec_lo
	s_waitcnt lgkmcnt(0)
	v_cndmask_b32_e64 v7, 0, 1, vcc_lo
	s_delay_alu instid0(VALU_DEP_1) | instskip(NEXT) | instid1(VALU_DEP_1)
	v_lshlrev_b32_e32 v7, 2, v7
	v_add_lshl_u32 v7, v7, v3, 2
	ds_bpermute_b32 v9, v7, v5
	ds_bpermute_b32 v8, v7, v1
	ds_bpermute_b32 v7, v7, v2
	v_cmpx_lt_u32_e64 v10, v4
	s_cbranch_execz .LBB17_340
; %bb.335:
	v_and_b32_e32 v5, 1, v6
	s_mov_b32 s4, exec_lo
	s_delay_alu instid0(VALU_DEP_1)
	v_cmpx_eq_u32_e32 1, v5
	s_cbranch_execz .LBB17_339
; %bb.336:
	s_waitcnt lgkmcnt(2)
	v_and_b32_e32 v5, 1, v9
	s_mov_b32 s5, exec_lo
	s_delay_alu instid0(VALU_DEP_1)
	v_cmpx_eq_u32_e32 1, v5
	s_cbranch_execz .LBB17_338
; %bb.337:
	s_waitcnt lgkmcnt(1)
	v_cmp_gt_f32_e32 vcc_lo, v1, v8
	v_dual_mov_b32 v6, 1 :: v_dual_cndmask_b32 v1, v1, v8
	s_waitcnt lgkmcnt(0)
	v_cmp_lt_f32_e32 vcc_lo, v2, v7
	v_cndmask_b32_e32 v2, v2, v7, vcc_lo
.LBB17_338:
	s_or_b32 exec_lo, exec_lo, s5
	s_waitcnt lgkmcnt(1)
	v_dual_mov_b32 v9, v6 :: v_dual_mov_b32 v8, v1
	s_waitcnt lgkmcnt(0)
	v_mov_b32_e32 v7, v2
.LBB17_339:
	s_or_b32 exec_lo, exec_lo, s4
	s_waitcnt lgkmcnt(0)
	s_delay_alu instid0(VALU_DEP_1)
	v_dual_mov_b32 v2, v7 :: v_dual_and_b32 v5, 0xff, v9
	v_dual_mov_b32 v1, v8 :: v_dual_mov_b32 v6, v9
.LBB17_340:
	s_or_b32 exec_lo, exec_lo, s3
	v_cmp_gt_u32_e32 vcc_lo, 24, v3
	v_add_nc_u32_e32 v10, 8, v3
	s_mov_b32 s3, exec_lo
	s_waitcnt lgkmcnt(0)
	v_cndmask_b32_e64 v7, 0, 1, vcc_lo
	s_delay_alu instid0(VALU_DEP_1) | instskip(NEXT) | instid1(VALU_DEP_1)
	v_lshlrev_b32_e32 v7, 3, v7
	v_add_lshl_u32 v7, v7, v3, 2
	ds_bpermute_b32 v9, v7, v5
	;; [unrolled: 47-line block ×3, first 2 shown]
	ds_bpermute_b32 v7, v8, v1
	ds_bpermute_b32 v8, v8, v2
	v_cmpx_lt_u32_e64 v10, v4
	s_cbranch_execz .LBB17_352
; %bb.347:
	v_and_b32_e32 v4, 1, v6
	s_mov_b32 s4, exec_lo
	s_delay_alu instid0(VALU_DEP_1)
	v_cmpx_eq_u32_e32 1, v4
	s_cbranch_execz .LBB17_351
; %bb.348:
	s_waitcnt lgkmcnt(2)
	v_and_b32_e32 v4, 1, v9
	s_mov_b32 s5, exec_lo
	s_delay_alu instid0(VALU_DEP_1)
	v_cmpx_eq_u32_e32 1, v4
	s_cbranch_execz .LBB17_350
; %bb.349:
	s_waitcnt lgkmcnt(1)
	v_cmp_gt_f32_e32 vcc_lo, v1, v7
	v_dual_mov_b32 v6, 1 :: v_dual_cndmask_b32 v1, v1, v7
	s_waitcnt lgkmcnt(0)
	v_cmp_lt_f32_e32 vcc_lo, v2, v8
	v_cndmask_b32_e32 v2, v2, v8, vcc_lo
.LBB17_350:
	s_or_b32 exec_lo, exec_lo, s5
	v_mov_b32_e32 v9, v6
	s_waitcnt lgkmcnt(0)
	s_delay_alu instid0(VALU_DEP_2)
	v_dual_mov_b32 v7, v1 :: v_dual_mov_b32 v8, v2
.LBB17_351:
	s_or_b32 exec_lo, exec_lo, s4
	s_waitcnt lgkmcnt(2)
	v_dual_mov_b32 v6, v9 :: v_dual_and_b32 v5, 0xff, v9
	s_waitcnt lgkmcnt(0)
	v_dual_mov_b32 v2, v8 :: v_dual_mov_b32 v1, v7
.LBB17_352:
	s_or_b32 exec_lo, exec_lo, s3
	s_delay_alu instid0(SALU_CYCLE_1)
	s_mov_b32 s3, exec_lo
	v_cmpx_eq_u32_e32 0, v3
	s_cbranch_execz .LBB17_354
; %bb.353:
	v_lshrrev_b32_e32 v4, 5, v0
	s_delay_alu instid0(VALU_DEP_1)
	v_mul_u32_u24_e32 v4, 12, v4
	ds_store_b8 v4, v6
	ds_store_2addr_b32 v4, v1, v2 offset0:1 offset1:2
.LBB17_354:
	s_or_b32 exec_lo, exec_lo, s3
	s_delay_alu instid0(SALU_CYCLE_1)
	s_mov_b32 s3, exec_lo
	s_waitcnt lgkmcnt(0)
	s_barrier
	buffer_gl0_inv
	v_cmpx_gt_u32_e32 8, v0
	s_cbranch_execz .LBB17_374
; %bb.355:
	v_mul_u32_u24_e32 v1, 12, v3
	s_add_i32 s2, s2, 31
	ds_load_u8 v4, v1
	ds_load_2addr_b32 v[1:2], v1 offset0:1 offset1:2
	v_and_b32_e32 v6, 7, v3
	s_lshr_b32 s2, s2, 5
	s_delay_alu instid0(VALU_DEP_1) | instskip(SKIP_1) | instid1(VALU_DEP_1)
	v_cmp_ne_u32_e32 vcc_lo, 7, v6
	v_add_co_ci_u32_e32 v5, vcc_lo, 0, v3, vcc_lo
	v_lshlrev_b32_e32 v7, 2, v5
	s_waitcnt lgkmcnt(0)
	v_dual_mov_b32 v8, v2 :: v_dual_and_b32 v5, 0xff, v4
	ds_bpermute_b32 v9, v7, v1
	ds_bpermute_b32 v10, v7, v2
	;; [unrolled: 1-line block ×3, first 2 shown]
	v_add_nc_u32_e32 v7, 1, v6
	s_delay_alu instid0(VALU_DEP_1)
	v_cmp_gt_u32_e32 vcc_lo, s2, v7
	v_mov_b32_e32 v7, v1
	s_and_saveexec_b32 s4, vcc_lo
	s_cbranch_execz .LBB17_361
; %bb.356:
	v_and_b32_e32 v5, 1, v4
	s_mov_b32 s5, exec_lo
	s_delay_alu instid0(VALU_DEP_1)
	v_cmpx_eq_u32_e32 1, v5
	s_cbranch_execz .LBB17_360
; %bb.357:
	s_waitcnt lgkmcnt(0)
	v_and_b32_e32 v5, 1, v11
	s_mov_b32 s6, exec_lo
	s_delay_alu instid0(VALU_DEP_1)
	v_cmpx_eq_u32_e32 1, v5
; %bb.358:
	v_cmp_gt_f32_e32 vcc_lo, v1, v9
	v_dual_mov_b32 v4, 1 :: v_dual_cndmask_b32 v1, v1, v9
	v_cmp_lt_f32_e32 vcc_lo, v2, v10
	v_cndmask_b32_e32 v2, v2, v10, vcc_lo
; %bb.359:
	s_or_b32 exec_lo, exec_lo, s6
	s_delay_alu instid0(VALU_DEP_1)
	v_dual_mov_b32 v11, v4 :: v_dual_mov_b32 v10, v2
	v_mov_b32_e32 v9, v1
.LBB17_360:
	s_or_b32 exec_lo, exec_lo, s5
	s_waitcnt lgkmcnt(0)
	s_delay_alu instid0(VALU_DEP_2) | instskip(NEXT) | instid1(VALU_DEP_2)
	v_dual_mov_b32 v8, v10 :: v_dual_and_b32 v5, 0xff, v11
	v_dual_mov_b32 v7, v9 :: v_dual_mov_b32 v4, v11
	v_dual_mov_b32 v2, v10 :: v_dual_mov_b32 v1, v9
.LBB17_361:
	s_or_b32 exec_lo, exec_lo, s4
	v_cmp_gt_u32_e32 vcc_lo, 6, v6
	v_add_nc_u32_e32 v12, 2, v6
	s_mov_b32 s4, exec_lo
	s_waitcnt lgkmcnt(2)
	v_cndmask_b32_e64 v9, 0, 1, vcc_lo
	s_delay_alu instid0(VALU_DEP_1) | instskip(SKIP_1) | instid1(VALU_DEP_1)
	v_lshlrev_b32_e32 v9, 1, v9
	s_waitcnt lgkmcnt(1)
	v_add_lshl_u32 v10, v9, v3, 2
	s_waitcnt lgkmcnt(0)
	ds_bpermute_b32 v11, v10, v5
	ds_bpermute_b32 v9, v10, v7
	;; [unrolled: 1-line block ×3, first 2 shown]
	v_cmpx_gt_u32_e64 s2, v12
	s_cbranch_execz .LBB17_367
; %bb.362:
	v_and_b32_e32 v5, 1, v4
	s_mov_b32 s5, exec_lo
	s_delay_alu instid0(VALU_DEP_1)
	v_cmpx_eq_u32_e32 1, v5
	s_cbranch_execz .LBB17_366
; %bb.363:
	s_waitcnt lgkmcnt(2)
	v_and_b32_e32 v5, 1, v11
	s_mov_b32 s6, exec_lo
	s_delay_alu instid0(VALU_DEP_1)
	v_cmpx_eq_u32_e32 1, v5
	s_cbranch_execz .LBB17_365
; %bb.364:
	s_waitcnt lgkmcnt(1)
	v_cmp_gt_f32_e32 vcc_lo, v1, v9
	v_dual_mov_b32 v4, 1 :: v_dual_cndmask_b32 v1, v1, v9
	s_waitcnt lgkmcnt(0)
	v_cmp_lt_f32_e32 vcc_lo, v2, v10
	v_cndmask_b32_e32 v2, v2, v10, vcc_lo
.LBB17_365:
	s_or_b32 exec_lo, exec_lo, s6
	s_waitcnt lgkmcnt(0)
	s_delay_alu instid0(VALU_DEP_1)
	v_dual_mov_b32 v11, v4 :: v_dual_mov_b32 v10, v2
	v_mov_b32_e32 v9, v1
.LBB17_366:
	s_or_b32 exec_lo, exec_lo, s5
	s_waitcnt lgkmcnt(0)
	s_delay_alu instid0(VALU_DEP_2) | instskip(NEXT) | instid1(VALU_DEP_2)
	v_dual_mov_b32 v8, v10 :: v_dual_and_b32 v5, 0xff, v11
	v_dual_mov_b32 v7, v9 :: v_dual_mov_b32 v4, v11
	v_dual_mov_b32 v2, v10 :: v_dual_mov_b32 v1, v9
.LBB17_367:
	s_or_b32 exec_lo, exec_lo, s4
	v_cmp_gt_u32_e32 vcc_lo, 4, v6
	v_add_nc_u32_e32 v6, 4, v6
	s_waitcnt lgkmcnt(1)
	v_cndmask_b32_e64 v9, 0, 1, vcc_lo
	s_delay_alu instid0(VALU_DEP_2) | instskip(NEXT) | instid1(VALU_DEP_2)
	v_cmp_gt_u32_e32 vcc_lo, s2, v6
	v_lshlrev_b32_e32 v9, 2, v9
	s_waitcnt lgkmcnt(0)
	s_delay_alu instid0(VALU_DEP_1)
	v_add_lshl_u32 v10, v9, v3, 2
	ds_bpermute_b32 v9, v10, v5
	ds_bpermute_b32 v3, v10, v7
	;; [unrolled: 1-line block ×3, first 2 shown]
	s_and_saveexec_b32 s2, vcc_lo
	s_cbranch_execz .LBB17_373
; %bb.368:
	v_and_b32_e32 v5, 1, v4
	s_mov_b32 s4, exec_lo
	s_delay_alu instid0(VALU_DEP_1)
	v_cmpx_eq_u32_e32 1, v5
	s_cbranch_execz .LBB17_372
; %bb.369:
	s_waitcnt lgkmcnt(2)
	v_and_b32_e32 v5, 1, v9
	s_mov_b32 s5, exec_lo
	s_delay_alu instid0(VALU_DEP_1)
	v_cmpx_eq_u32_e32 1, v5
	s_cbranch_execz .LBB17_371
; %bb.370:
	s_waitcnt lgkmcnt(1)
	v_cmp_gt_f32_e32 vcc_lo, v1, v3
	v_dual_mov_b32 v4, 1 :: v_dual_cndmask_b32 v1, v1, v3
	s_waitcnt lgkmcnt(0)
	v_cmp_lt_f32_e32 vcc_lo, v2, v7
	v_cndmask_b32_e32 v2, v2, v7, vcc_lo
.LBB17_371:
	s_or_b32 exec_lo, exec_lo, s5
	v_mov_b32_e32 v9, v4
	s_waitcnt lgkmcnt(1)
	v_mov_b32_e32 v3, v1
	s_waitcnt lgkmcnt(0)
	v_mov_b32_e32 v7, v2
.LBB17_372:
	s_or_b32 exec_lo, exec_lo, s4
	s_waitcnt lgkmcnt(0)
	s_delay_alu instid0(VALU_DEP_1)
	v_dual_mov_b32 v2, v7 :: v_dual_and_b32 v5, 0xff, v9
	v_mov_b32_e32 v1, v3
.LBB17_373:
	s_or_b32 exec_lo, exec_lo, s2
.LBB17_374:
	s_delay_alu instid0(SALU_CYCLE_1)
	s_or_b32 exec_lo, exec_lo, s3
.LBB17_375:
	s_mov_b32 s10, 0
                                        ; implicit-def: $vgpr4
                                        ; implicit-def: $vgpr6
	s_mov_b32 s2, exec_lo
	v_cmpx_eq_u32_e32 0, v0
	s_xor_b32 s4, exec_lo, s2
	s_cbranch_execz .LBB17_381
; %bb.376:
	s_waitcnt lgkmcnt(1)
	v_dual_mov_b32 v4, s23 :: v_dual_mov_b32 v3, s22
	v_mov_b32_e32 v6, s26
	s_cmp_eq_u64 s[18:19], 0
	s_cbranch_scc1 .LBB17_380
; %bb.377:
	s_bitcmp0_b32 s26, 0
	s_cbranch_scc1 .LBB17_379
; %bb.378:
	v_and_b32_e32 v3, 1, v5
	v_cmp_gt_f32_e32 vcc_lo, s22, v1
	s_waitcnt lgkmcnt(0)
	v_cmp_lt_f32_e64 s3, s23, v2
	s_delay_alu instid0(VALU_DEP_3) | instskip(NEXT) | instid1(VALU_DEP_1)
	v_cmp_eq_u32_e64 s2, 1, v3
	s_and_b32 vcc_lo, s2, vcc_lo
	v_cndmask_b32_e64 v5, s26, 1, s2
	v_cndmask_b32_e32 v1, s22, v1, vcc_lo
	s_and_b32 vcc_lo, s2, s3
	v_cndmask_b32_e32 v2, s23, v2, vcc_lo
.LBB17_379:
	s_waitcnt lgkmcnt(0)
	s_delay_alu instid0(VALU_DEP_1)
	v_dual_mov_b32 v4, v2 :: v_dual_mov_b32 v3, v1
	v_mov_b32_e32 v6, v5
.LBB17_380:
	s_mov_b32 s10, exec_lo
.LBB17_381:
	s_or_b32 exec_lo, exec_lo, s4
	s_delay_alu instid0(SALU_CYCLE_1)
	s_and_b32 vcc_lo, exec_lo, s28
	s_cbranch_vccnz .LBB17_106
.LBB17_382:
	s_branch .LBB17_531
.LBB17_383:
	v_mad_u64_u32 v[3:4], null, v25, 12, s[8:9]
	s_clause 0x1
	global_load_u8 v18, v[3:4], off
	global_load_b64 v[3:4], v[3:4], off offset:4
	s_or_b32 exec_lo, exec_lo, s12
	s_and_saveexec_b32 s8, s7
	s_cbranch_execz .LBB17_240
.LBB17_384:
	s_waitcnt vmcnt(1)
	v_and_b32_e32 v25, 1, v17
	s_mov_b32 s9, exec_lo
	s_delay_alu instid0(VALU_DEP_1)
	v_cmpx_eq_u32_e32 1, v25
	s_cbranch_execz .LBB17_388
; %bb.385:
	v_and_b32_e32 v24, 1, v24
	s_mov_b32 s12, exec_lo
	s_delay_alu instid0(VALU_DEP_1)
	v_cmpx_eq_u32_e32 1, v24
	s_cbranch_execz .LBB17_387
; %bb.386:
	s_waitcnt vmcnt(0)
	v_cmp_lt_f32_e64 s7, v2, v16
	v_mov_b32_e32 v17, 1
	s_delay_alu instid0(VALU_DEP_2) | instskip(SKIP_1) | instid1(VALU_DEP_1)
	v_cndmask_b32_e64 v2, v2, v16, s7
	v_cmp_lt_f32_e64 s7, v15, v1
	v_cndmask_b32_e64 v1, v1, v15, s7
.LBB17_387:
	s_or_b32 exec_lo, exec_lo, s12
	s_waitcnt vmcnt(0)
	s_delay_alu instid0(VALU_DEP_1)
	v_dual_mov_b32 v16, v2 :: v_dual_mov_b32 v15, v1
	v_mov_b32_e32 v24, v17
.LBB17_388:
	s_or_b32 exec_lo, exec_lo, s9
	s_delay_alu instid0(VALU_DEP_1)
	v_mov_b32_e32 v17, v24
	s_waitcnt vmcnt(0)
	v_dual_mov_b32 v1, v15 :: v_dual_mov_b32 v2, v16
	s_or_b32 exec_lo, exec_lo, s8
	s_and_saveexec_b32 s7, s6
	s_cbranch_execz .LBB17_241
.LBB17_389:
	s_waitcnt vmcnt(0)
	v_and_b32_e32 v15, 1, v17
	s_mov_b32 s8, exec_lo
	s_delay_alu instid0(VALU_DEP_1)
	v_cmpx_eq_u32_e32 1, v15
	s_cbranch_execz .LBB17_393
; %bb.390:
	v_and_b32_e32 v15, 1, v23
	s_mov_b32 s9, exec_lo
	s_delay_alu instid0(VALU_DEP_1)
	v_cmpx_eq_u32_e32 1, v15
; %bb.391:
	v_cmp_lt_f32_e64 s6, v2, v14
	v_mov_b32_e32 v17, 1
	s_delay_alu instid0(VALU_DEP_2) | instskip(SKIP_1) | instid1(VALU_DEP_1)
	v_cndmask_b32_e64 v2, v2, v14, s6
	v_cmp_lt_f32_e64 s6, v13, v1
	v_cndmask_b32_e64 v1, v1, v13, s6
; %bb.392:
	s_or_b32 exec_lo, exec_lo, s9
	s_delay_alu instid0(VALU_DEP_1)
	v_dual_mov_b32 v14, v2 :: v_dual_mov_b32 v13, v1
	v_mov_b32_e32 v23, v17
.LBB17_393:
	s_or_b32 exec_lo, exec_lo, s8
	s_delay_alu instid0(VALU_DEP_1) | instskip(NEXT) | instid1(VALU_DEP_3)
	v_dual_mov_b32 v17, v23 :: v_dual_mov_b32 v2, v14
	v_mov_b32_e32 v1, v13
	s_or_b32 exec_lo, exec_lo, s7
	s_and_saveexec_b32 s6, s5
	s_cbranch_execz .LBB17_242
.LBB17_394:
	s_waitcnt vmcnt(0)
	v_and_b32_e32 v13, 1, v17
	s_mov_b32 s7, exec_lo
	s_delay_alu instid0(VALU_DEP_1)
	v_cmpx_eq_u32_e32 1, v13
	s_cbranch_execz .LBB17_398
; %bb.395:
	v_and_b32_e32 v13, 1, v22
	s_mov_b32 s8, exec_lo
	s_delay_alu instid0(VALU_DEP_1)
	v_cmpx_eq_u32_e32 1, v13
; %bb.396:
	v_cmp_lt_f32_e64 s5, v2, v12
	v_mov_b32_e32 v17, 1
	s_delay_alu instid0(VALU_DEP_2) | instskip(SKIP_1) | instid1(VALU_DEP_1)
	v_cndmask_b32_e64 v2, v2, v12, s5
	v_cmp_lt_f32_e64 s5, v11, v1
	v_cndmask_b32_e64 v1, v1, v11, s5
; %bb.397:
	s_or_b32 exec_lo, exec_lo, s8
	s_delay_alu instid0(VALU_DEP_1)
	v_dual_mov_b32 v12, v2 :: v_dual_mov_b32 v11, v1
	v_mov_b32_e32 v22, v17
.LBB17_398:
	s_or_b32 exec_lo, exec_lo, s7
	s_delay_alu instid0(VALU_DEP_1) | instskip(NEXT) | instid1(VALU_DEP_3)
	v_dual_mov_b32 v17, v22 :: v_dual_mov_b32 v2, v12
	v_mov_b32_e32 v1, v11
	s_or_b32 exec_lo, exec_lo, s6
	s_and_saveexec_b32 s5, s4
	s_cbranch_execz .LBB17_243
.LBB17_399:
	s_waitcnt vmcnt(0)
	v_and_b32_e32 v11, 1, v17
	s_mov_b32 s6, exec_lo
	s_delay_alu instid0(VALU_DEP_1)
	v_cmpx_eq_u32_e32 1, v11
	s_cbranch_execz .LBB17_403
; %bb.400:
	v_and_b32_e32 v11, 1, v21
	s_mov_b32 s7, exec_lo
	s_delay_alu instid0(VALU_DEP_1)
	v_cmpx_eq_u32_e32 1, v11
; %bb.401:
	v_cmp_lt_f32_e64 s4, v2, v10
	v_mov_b32_e32 v17, 1
	s_delay_alu instid0(VALU_DEP_2) | instskip(SKIP_1) | instid1(VALU_DEP_1)
	v_cndmask_b32_e64 v2, v2, v10, s4
	v_cmp_lt_f32_e64 s4, v9, v1
	v_cndmask_b32_e64 v1, v1, v9, s4
; %bb.402:
	s_or_b32 exec_lo, exec_lo, s7
	s_delay_alu instid0(VALU_DEP_1)
	v_dual_mov_b32 v10, v2 :: v_dual_mov_b32 v9, v1
	v_mov_b32_e32 v21, v17
.LBB17_403:
	s_or_b32 exec_lo, exec_lo, s6
	s_delay_alu instid0(VALU_DEP_1) | instskip(NEXT) | instid1(VALU_DEP_3)
	v_dual_mov_b32 v17, v21 :: v_dual_mov_b32 v2, v10
	v_mov_b32_e32 v1, v9
	s_or_b32 exec_lo, exec_lo, s5
	s_and_saveexec_b32 s4, s3
	s_cbranch_execz .LBB17_244
.LBB17_404:
	s_waitcnt vmcnt(0)
	v_and_b32_e32 v9, 1, v17
	s_mov_b32 s5, exec_lo
	s_delay_alu instid0(VALU_DEP_1)
	v_cmpx_eq_u32_e32 1, v9
	s_cbranch_execz .LBB17_408
; %bb.405:
	v_and_b32_e32 v9, 1, v20
	s_mov_b32 s6, exec_lo
	s_delay_alu instid0(VALU_DEP_1)
	v_cmpx_eq_u32_e32 1, v9
; %bb.406:
	v_cmp_lt_f32_e64 s3, v2, v8
	v_mov_b32_e32 v17, 1
	s_delay_alu instid0(VALU_DEP_2) | instskip(SKIP_1) | instid1(VALU_DEP_1)
	v_cndmask_b32_e64 v2, v2, v8, s3
	v_cmp_lt_f32_e64 s3, v7, v1
	v_cndmask_b32_e64 v1, v1, v7, s3
; %bb.407:
	s_or_b32 exec_lo, exec_lo, s6
	s_delay_alu instid0(VALU_DEP_1)
	v_dual_mov_b32 v8, v2 :: v_dual_mov_b32 v7, v1
	v_mov_b32_e32 v20, v17
.LBB17_408:
	s_or_b32 exec_lo, exec_lo, s5
	s_delay_alu instid0(VALU_DEP_1) | instskip(NEXT) | instid1(VALU_DEP_3)
	v_mov_b32_e32 v17, v20
	v_dual_mov_b32 v1, v7 :: v_dual_mov_b32 v2, v8
	s_or_b32 exec_lo, exec_lo, s4
	s_and_saveexec_b32 s3, s2
	s_cbranch_execz .LBB17_245
.LBB17_409:
	s_waitcnt vmcnt(0)
	v_and_b32_e32 v7, 1, v17
	s_mov_b32 s4, exec_lo
	s_delay_alu instid0(VALU_DEP_1)
	v_cmpx_eq_u32_e32 1, v7
	s_cbranch_execz .LBB17_413
; %bb.410:
	v_and_b32_e32 v7, 1, v19
	s_mov_b32 s5, exec_lo
	s_delay_alu instid0(VALU_DEP_1)
	v_cmpx_eq_u32_e32 1, v7
; %bb.411:
	v_cmp_lt_f32_e64 s2, v2, v6
	v_mov_b32_e32 v17, 1
	s_delay_alu instid0(VALU_DEP_2) | instskip(SKIP_1) | instid1(VALU_DEP_1)
	v_cndmask_b32_e64 v2, v2, v6, s2
	v_cmp_lt_f32_e64 s2, v5, v1
	v_cndmask_b32_e64 v1, v1, v5, s2
; %bb.412:
	s_or_b32 exec_lo, exec_lo, s5
	s_delay_alu instid0(VALU_DEP_1)
	v_dual_mov_b32 v6, v2 :: v_dual_mov_b32 v5, v1
	v_mov_b32_e32 v19, v17
.LBB17_413:
	s_or_b32 exec_lo, exec_lo, s4
	s_delay_alu instid0(VALU_DEP_1) | instskip(NEXT) | instid1(VALU_DEP_3)
	v_dual_mov_b32 v17, v19 :: v_dual_mov_b32 v2, v6
	v_mov_b32_e32 v1, v5
	s_or_b32 exec_lo, exec_lo, s3
	s_and_saveexec_b32 s2, vcc_lo
	s_cbranch_execz .LBB17_419
.LBB17_414:
	s_waitcnt vmcnt(0)
	v_and_b32_e32 v5, 1, v17
	s_mov_b32 s3, exec_lo
	s_delay_alu instid0(VALU_DEP_1)
	v_cmpx_eq_u32_e32 1, v5
	s_cbranch_execz .LBB17_418
; %bb.415:
	v_and_b32_e32 v5, 1, v18
	s_mov_b32 s4, exec_lo
	s_delay_alu instid0(VALU_DEP_1)
	v_cmpx_eq_u32_e32 1, v5
; %bb.416:
	v_cmp_lt_f32_e32 vcc_lo, v2, v4
	v_dual_mov_b32 v17, 1 :: v_dual_cndmask_b32 v2, v2, v4
	v_cmp_lt_f32_e32 vcc_lo, v3, v1
	v_cndmask_b32_e32 v1, v1, v3, vcc_lo
; %bb.417:
	s_or_b32 exec_lo, exec_lo, s4
	s_delay_alu instid0(VALU_DEP_1)
	v_dual_mov_b32 v4, v2 :: v_dual_mov_b32 v3, v1
	v_mov_b32_e32 v18, v17
.LBB17_418:
	s_or_b32 exec_lo, exec_lo, s3
	s_delay_alu instid0(VALU_DEP_1) | instskip(NEXT) | instid1(VALU_DEP_3)
	v_dual_mov_b32 v17, v18 :: v_dual_mov_b32 v2, v4
	v_mov_b32_e32 v1, v3
.LBB17_419:
	s_or_b32 exec_lo, exec_lo, s2
	s_waitcnt vmcnt(0)
	v_mbcnt_lo_u32_b32 v3, -1, 0
	v_and_b32_e32 v6, 0xff, v17
	s_min_u32 s2, s11, 0x100
	s_delay_alu instid0(VALU_DEP_2) | instskip(SKIP_2) | instid1(VALU_DEP_1)
	v_cmp_ne_u32_e32 vcc_lo, 31, v3
	v_add_nc_u32_e32 v5, 1, v3
	v_add_co_ci_u32_e32 v4, vcc_lo, 0, v3, vcc_lo
	v_lshlrev_b32_e32 v4, 2, v4
	ds_bpermute_b32 v9, v4, v6
	ds_bpermute_b32 v7, v4, v1
	;; [unrolled: 1-line block ×3, first 2 shown]
	v_and_b32_e32 v4, 0xe0, v0
	s_delay_alu instid0(VALU_DEP_1) | instskip(NEXT) | instid1(VALU_DEP_1)
	v_sub_nc_u32_e64 v4, s2, v4 clamp
	v_cmp_lt_u32_e32 vcc_lo, v5, v4
	v_mov_b32_e32 v5, v6
	s_and_saveexec_b32 s3, vcc_lo
	s_delay_alu instid0(SALU_CYCLE_1)
	s_xor_b32 s3, exec_lo, s3
	s_cbranch_execz .LBB17_425
; %bb.420:
	v_and_b32_e32 v5, 1, v17
	s_mov_b32 s4, exec_lo
	s_delay_alu instid0(VALU_DEP_1)
	v_cmpx_eq_u32_e32 1, v5
	s_cbranch_execz .LBB17_424
; %bb.421:
	s_waitcnt lgkmcnt(2)
	v_and_b32_e32 v5, 1, v9
	s_mov_b32 s5, exec_lo
	s_delay_alu instid0(VALU_DEP_1)
	v_cmpx_eq_u32_e32 1, v5
	s_cbranch_execz .LBB17_423
; %bb.422:
	s_waitcnt lgkmcnt(1)
	v_cmp_gt_f32_e32 vcc_lo, v1, v7
	v_dual_mov_b32 v6, 1 :: v_dual_cndmask_b32 v1, v1, v7
	s_waitcnt lgkmcnt(0)
	v_cmp_lt_f32_e32 vcc_lo, v2, v8
	v_cndmask_b32_e32 v2, v2, v8, vcc_lo
.LBB17_423:
	s_or_b32 exec_lo, exec_lo, s5
	v_mov_b32_e32 v9, v6
	s_waitcnt lgkmcnt(0)
	s_delay_alu instid0(VALU_DEP_2)
	v_dual_mov_b32 v7, v1 :: v_dual_mov_b32 v8, v2
.LBB17_424:
	s_or_b32 exec_lo, exec_lo, s4
	s_waitcnt lgkmcnt(0)
	s_delay_alu instid0(VALU_DEP_1) | instskip(NEXT) | instid1(VALU_DEP_2)
	v_dual_mov_b32 v2, v8 :: v_dual_and_b32 v5, 0xff, v9
	v_dual_mov_b32 v1, v7 :: v_dual_mov_b32 v6, v9
.LBB17_425:
	s_or_b32 exec_lo, exec_lo, s3
	v_cmp_gt_u32_e32 vcc_lo, 30, v3
	v_add_nc_u32_e32 v10, 2, v3
	s_mov_b32 s3, exec_lo
	s_waitcnt lgkmcnt(1)
	v_cndmask_b32_e64 v7, 0, 1, vcc_lo
	s_delay_alu instid0(VALU_DEP_1) | instskip(NEXT) | instid1(VALU_DEP_1)
	v_lshlrev_b32_e32 v7, 1, v7
	v_add_lshl_u32 v7, v7, v3, 2
	ds_bpermute_b32 v9, v7, v5
	s_waitcnt lgkmcnt(1)
	ds_bpermute_b32 v8, v7, v1
	ds_bpermute_b32 v7, v7, v2
	v_cmpx_lt_u32_e64 v10, v4
	s_cbranch_execz .LBB17_431
; %bb.426:
	v_and_b32_e32 v5, 1, v6
	s_mov_b32 s4, exec_lo
	s_delay_alu instid0(VALU_DEP_1)
	v_cmpx_eq_u32_e32 1, v5
	s_cbranch_execz .LBB17_430
; %bb.427:
	s_waitcnt lgkmcnt(2)
	v_and_b32_e32 v5, 1, v9
	s_mov_b32 s5, exec_lo
	s_delay_alu instid0(VALU_DEP_1)
	v_cmpx_eq_u32_e32 1, v5
	s_cbranch_execz .LBB17_429
; %bb.428:
	s_waitcnt lgkmcnt(1)
	v_cmp_gt_f32_e32 vcc_lo, v1, v8
	v_dual_mov_b32 v6, 1 :: v_dual_cndmask_b32 v1, v1, v8
	s_waitcnt lgkmcnt(0)
	v_cmp_lt_f32_e32 vcc_lo, v2, v7
	v_cndmask_b32_e32 v2, v2, v7, vcc_lo
.LBB17_429:
	s_or_b32 exec_lo, exec_lo, s5
	s_waitcnt lgkmcnt(1)
	v_dual_mov_b32 v9, v6 :: v_dual_mov_b32 v8, v1
	s_waitcnt lgkmcnt(0)
	v_mov_b32_e32 v7, v2
.LBB17_430:
	s_or_b32 exec_lo, exec_lo, s4
	s_waitcnt lgkmcnt(0)
	s_delay_alu instid0(VALU_DEP_1)
	v_dual_mov_b32 v2, v7 :: v_dual_and_b32 v5, 0xff, v9
	v_dual_mov_b32 v1, v8 :: v_dual_mov_b32 v6, v9
.LBB17_431:
	s_or_b32 exec_lo, exec_lo, s3
	v_cmp_gt_u32_e32 vcc_lo, 28, v3
	v_add_nc_u32_e32 v10, 4, v3
	s_mov_b32 s3, exec_lo
	s_waitcnt lgkmcnt(0)
	v_cndmask_b32_e64 v7, 0, 1, vcc_lo
	s_delay_alu instid0(VALU_DEP_1) | instskip(NEXT) | instid1(VALU_DEP_1)
	v_lshlrev_b32_e32 v7, 2, v7
	v_add_lshl_u32 v7, v7, v3, 2
	ds_bpermute_b32 v9, v7, v5
	ds_bpermute_b32 v8, v7, v1
	ds_bpermute_b32 v7, v7, v2
	v_cmpx_lt_u32_e64 v10, v4
	s_cbranch_execz .LBB17_437
; %bb.432:
	v_and_b32_e32 v5, 1, v6
	s_mov_b32 s4, exec_lo
	s_delay_alu instid0(VALU_DEP_1)
	v_cmpx_eq_u32_e32 1, v5
	s_cbranch_execz .LBB17_436
; %bb.433:
	s_waitcnt lgkmcnt(2)
	v_and_b32_e32 v5, 1, v9
	s_mov_b32 s5, exec_lo
	s_delay_alu instid0(VALU_DEP_1)
	v_cmpx_eq_u32_e32 1, v5
	s_cbranch_execz .LBB17_435
; %bb.434:
	s_waitcnt lgkmcnt(1)
	v_cmp_gt_f32_e32 vcc_lo, v1, v8
	v_dual_mov_b32 v6, 1 :: v_dual_cndmask_b32 v1, v1, v8
	s_waitcnt lgkmcnt(0)
	v_cmp_lt_f32_e32 vcc_lo, v2, v7
	v_cndmask_b32_e32 v2, v2, v7, vcc_lo
.LBB17_435:
	s_or_b32 exec_lo, exec_lo, s5
	s_waitcnt lgkmcnt(1)
	v_dual_mov_b32 v9, v6 :: v_dual_mov_b32 v8, v1
	s_waitcnt lgkmcnt(0)
	v_mov_b32_e32 v7, v2
.LBB17_436:
	s_or_b32 exec_lo, exec_lo, s4
	s_waitcnt lgkmcnt(0)
	s_delay_alu instid0(VALU_DEP_1)
	v_dual_mov_b32 v2, v7 :: v_dual_and_b32 v5, 0xff, v9
	v_dual_mov_b32 v1, v8 :: v_dual_mov_b32 v6, v9
.LBB17_437:
	s_or_b32 exec_lo, exec_lo, s3
	v_cmp_gt_u32_e32 vcc_lo, 24, v3
	v_add_nc_u32_e32 v10, 8, v3
	s_mov_b32 s3, exec_lo
	s_waitcnt lgkmcnt(0)
	v_cndmask_b32_e64 v7, 0, 1, vcc_lo
	s_delay_alu instid0(VALU_DEP_1) | instskip(NEXT) | instid1(VALU_DEP_1)
	v_lshlrev_b32_e32 v7, 3, v7
	v_add_lshl_u32 v7, v7, v3, 2
	ds_bpermute_b32 v9, v7, v5
	;; [unrolled: 47-line block ×3, first 2 shown]
	ds_bpermute_b32 v7, v8, v1
	ds_bpermute_b32 v8, v8, v2
	v_cmpx_lt_u32_e64 v10, v4
	s_cbranch_execz .LBB17_449
; %bb.444:
	v_and_b32_e32 v4, 1, v6
	s_mov_b32 s4, exec_lo
	s_delay_alu instid0(VALU_DEP_1)
	v_cmpx_eq_u32_e32 1, v4
	s_cbranch_execz .LBB17_448
; %bb.445:
	s_waitcnt lgkmcnt(2)
	v_and_b32_e32 v4, 1, v9
	s_mov_b32 s5, exec_lo
	s_delay_alu instid0(VALU_DEP_1)
	v_cmpx_eq_u32_e32 1, v4
	s_cbranch_execz .LBB17_447
; %bb.446:
	s_waitcnt lgkmcnt(1)
	v_cmp_gt_f32_e32 vcc_lo, v1, v7
	v_dual_mov_b32 v6, 1 :: v_dual_cndmask_b32 v1, v1, v7
	s_waitcnt lgkmcnt(0)
	v_cmp_lt_f32_e32 vcc_lo, v2, v8
	v_cndmask_b32_e32 v2, v2, v8, vcc_lo
.LBB17_447:
	s_or_b32 exec_lo, exec_lo, s5
	v_mov_b32_e32 v9, v6
	s_waitcnt lgkmcnt(0)
	s_delay_alu instid0(VALU_DEP_2)
	v_dual_mov_b32 v7, v1 :: v_dual_mov_b32 v8, v2
.LBB17_448:
	s_or_b32 exec_lo, exec_lo, s4
	s_waitcnt lgkmcnt(2)
	v_dual_mov_b32 v6, v9 :: v_dual_and_b32 v5, 0xff, v9
	s_waitcnt lgkmcnt(0)
	v_dual_mov_b32 v2, v8 :: v_dual_mov_b32 v1, v7
.LBB17_449:
	s_or_b32 exec_lo, exec_lo, s3
	s_delay_alu instid0(SALU_CYCLE_1)
	s_mov_b32 s3, exec_lo
	v_cmpx_eq_u32_e32 0, v3
	s_cbranch_execz .LBB17_451
; %bb.450:
	v_lshrrev_b32_e32 v4, 5, v0
	s_delay_alu instid0(VALU_DEP_1)
	v_mul_u32_u24_e32 v4, 12, v4
	ds_store_b8 v4, v6
	ds_store_2addr_b32 v4, v1, v2 offset0:1 offset1:2
.LBB17_451:
	s_or_b32 exec_lo, exec_lo, s3
	s_delay_alu instid0(SALU_CYCLE_1)
	s_mov_b32 s3, exec_lo
	s_waitcnt lgkmcnt(0)
	s_barrier
	buffer_gl0_inv
	v_cmpx_gt_u32_e32 8, v0
	s_cbranch_execz .LBB17_471
; %bb.452:
	v_mul_u32_u24_e32 v1, 12, v3
	s_add_i32 s2, s2, 31
	ds_load_u8 v4, v1
	ds_load_2addr_b32 v[1:2], v1 offset0:1 offset1:2
	v_and_b32_e32 v6, 7, v3
	s_lshr_b32 s2, s2, 5
	s_delay_alu instid0(VALU_DEP_1) | instskip(SKIP_1) | instid1(VALU_DEP_1)
	v_cmp_ne_u32_e32 vcc_lo, 7, v6
	v_add_co_ci_u32_e32 v5, vcc_lo, 0, v3, vcc_lo
	v_lshlrev_b32_e32 v7, 2, v5
	s_waitcnt lgkmcnt(0)
	v_dual_mov_b32 v8, v2 :: v_dual_and_b32 v5, 0xff, v4
	ds_bpermute_b32 v9, v7, v1
	ds_bpermute_b32 v10, v7, v2
	;; [unrolled: 1-line block ×3, first 2 shown]
	v_add_nc_u32_e32 v7, 1, v6
	s_delay_alu instid0(VALU_DEP_1)
	v_cmp_gt_u32_e32 vcc_lo, s2, v7
	v_mov_b32_e32 v7, v1
	s_and_saveexec_b32 s4, vcc_lo
	s_cbranch_execz .LBB17_458
; %bb.453:
	v_and_b32_e32 v5, 1, v4
	s_mov_b32 s5, exec_lo
	s_delay_alu instid0(VALU_DEP_1)
	v_cmpx_eq_u32_e32 1, v5
	s_cbranch_execz .LBB17_457
; %bb.454:
	s_waitcnt lgkmcnt(0)
	v_and_b32_e32 v5, 1, v11
	s_mov_b32 s6, exec_lo
	s_delay_alu instid0(VALU_DEP_1)
	v_cmpx_eq_u32_e32 1, v5
; %bb.455:
	v_cmp_gt_f32_e32 vcc_lo, v1, v9
	v_dual_mov_b32 v4, 1 :: v_dual_cndmask_b32 v1, v1, v9
	v_cmp_lt_f32_e32 vcc_lo, v2, v10
	v_cndmask_b32_e32 v2, v2, v10, vcc_lo
; %bb.456:
	s_or_b32 exec_lo, exec_lo, s6
	s_delay_alu instid0(VALU_DEP_1)
	v_dual_mov_b32 v11, v4 :: v_dual_mov_b32 v10, v2
	v_mov_b32_e32 v9, v1
.LBB17_457:
	s_or_b32 exec_lo, exec_lo, s5
	s_waitcnt lgkmcnt(0)
	s_delay_alu instid0(VALU_DEP_2) | instskip(NEXT) | instid1(VALU_DEP_2)
	v_dual_mov_b32 v8, v10 :: v_dual_and_b32 v5, 0xff, v11
	v_dual_mov_b32 v7, v9 :: v_dual_mov_b32 v4, v11
	v_dual_mov_b32 v2, v10 :: v_dual_mov_b32 v1, v9
.LBB17_458:
	s_or_b32 exec_lo, exec_lo, s4
	v_cmp_gt_u32_e32 vcc_lo, 6, v6
	v_add_nc_u32_e32 v12, 2, v6
	s_mov_b32 s4, exec_lo
	s_waitcnt lgkmcnt(2)
	v_cndmask_b32_e64 v9, 0, 1, vcc_lo
	s_delay_alu instid0(VALU_DEP_1) | instskip(SKIP_1) | instid1(VALU_DEP_1)
	v_lshlrev_b32_e32 v9, 1, v9
	s_waitcnt lgkmcnt(1)
	v_add_lshl_u32 v10, v9, v3, 2
	s_waitcnt lgkmcnt(0)
	ds_bpermute_b32 v11, v10, v5
	ds_bpermute_b32 v9, v10, v7
	ds_bpermute_b32 v10, v10, v8
	v_cmpx_gt_u32_e64 s2, v12
	s_cbranch_execz .LBB17_464
; %bb.459:
	v_and_b32_e32 v5, 1, v4
	s_mov_b32 s5, exec_lo
	s_delay_alu instid0(VALU_DEP_1)
	v_cmpx_eq_u32_e32 1, v5
	s_cbranch_execz .LBB17_463
; %bb.460:
	s_waitcnt lgkmcnt(2)
	v_and_b32_e32 v5, 1, v11
	s_mov_b32 s6, exec_lo
	s_delay_alu instid0(VALU_DEP_1)
	v_cmpx_eq_u32_e32 1, v5
	s_cbranch_execz .LBB17_462
; %bb.461:
	s_waitcnt lgkmcnt(1)
	v_cmp_gt_f32_e32 vcc_lo, v1, v9
	v_dual_mov_b32 v4, 1 :: v_dual_cndmask_b32 v1, v1, v9
	s_waitcnt lgkmcnt(0)
	v_cmp_lt_f32_e32 vcc_lo, v2, v10
	v_cndmask_b32_e32 v2, v2, v10, vcc_lo
.LBB17_462:
	s_or_b32 exec_lo, exec_lo, s6
	s_waitcnt lgkmcnt(0)
	s_delay_alu instid0(VALU_DEP_1)
	v_dual_mov_b32 v11, v4 :: v_dual_mov_b32 v10, v2
	v_mov_b32_e32 v9, v1
.LBB17_463:
	s_or_b32 exec_lo, exec_lo, s5
	s_waitcnt lgkmcnt(0)
	s_delay_alu instid0(VALU_DEP_2) | instskip(NEXT) | instid1(VALU_DEP_2)
	v_dual_mov_b32 v8, v10 :: v_dual_and_b32 v5, 0xff, v11
	v_dual_mov_b32 v7, v9 :: v_dual_mov_b32 v4, v11
	v_dual_mov_b32 v2, v10 :: v_dual_mov_b32 v1, v9
.LBB17_464:
	s_or_b32 exec_lo, exec_lo, s4
	v_cmp_gt_u32_e32 vcc_lo, 4, v6
	v_add_nc_u32_e32 v6, 4, v6
	s_waitcnt lgkmcnt(1)
	v_cndmask_b32_e64 v9, 0, 1, vcc_lo
	s_delay_alu instid0(VALU_DEP_2) | instskip(NEXT) | instid1(VALU_DEP_2)
	v_cmp_gt_u32_e32 vcc_lo, s2, v6
	v_lshlrev_b32_e32 v9, 2, v9
	s_waitcnt lgkmcnt(0)
	s_delay_alu instid0(VALU_DEP_1)
	v_add_lshl_u32 v10, v9, v3, 2
	ds_bpermute_b32 v9, v10, v5
	ds_bpermute_b32 v3, v10, v7
	;; [unrolled: 1-line block ×3, first 2 shown]
	s_and_saveexec_b32 s2, vcc_lo
	s_cbranch_execz .LBB17_470
; %bb.465:
	v_and_b32_e32 v5, 1, v4
	s_mov_b32 s4, exec_lo
	s_delay_alu instid0(VALU_DEP_1)
	v_cmpx_eq_u32_e32 1, v5
	s_cbranch_execz .LBB17_469
; %bb.466:
	s_waitcnt lgkmcnt(2)
	v_and_b32_e32 v5, 1, v9
	s_mov_b32 s5, exec_lo
	s_delay_alu instid0(VALU_DEP_1)
	v_cmpx_eq_u32_e32 1, v5
	s_cbranch_execz .LBB17_468
; %bb.467:
	s_waitcnt lgkmcnt(1)
	v_cmp_gt_f32_e32 vcc_lo, v1, v3
	v_dual_mov_b32 v4, 1 :: v_dual_cndmask_b32 v1, v1, v3
	s_waitcnt lgkmcnt(0)
	v_cmp_lt_f32_e32 vcc_lo, v2, v7
	v_cndmask_b32_e32 v2, v2, v7, vcc_lo
.LBB17_468:
	s_or_b32 exec_lo, exec_lo, s5
	v_mov_b32_e32 v9, v4
	s_waitcnt lgkmcnt(1)
	v_mov_b32_e32 v3, v1
	s_waitcnt lgkmcnt(0)
	v_mov_b32_e32 v7, v2
.LBB17_469:
	s_or_b32 exec_lo, exec_lo, s4
	s_waitcnt lgkmcnt(0)
	s_delay_alu instid0(VALU_DEP_1)
	v_dual_mov_b32 v2, v7 :: v_dual_and_b32 v5, 0xff, v9
	v_mov_b32_e32 v1, v3
.LBB17_470:
	s_or_b32 exec_lo, exec_lo, s2
.LBB17_471:
	s_delay_alu instid0(SALU_CYCLE_1)
	s_or_b32 exec_lo, exec_lo, s3
.LBB17_472:
                                        ; implicit-def: $vgpr4
                                        ; implicit-def: $vgpr6
	s_delay_alu instid0(SALU_CYCLE_1)
	s_mov_b32 s2, exec_lo
	v_cmpx_eq_u32_e32 0, v0
	s_xor_b32 s4, exec_lo, s2
	s_cbranch_execz .LBB17_478
; %bb.473:
	s_waitcnt lgkmcnt(1)
	v_dual_mov_b32 v4, s23 :: v_dual_mov_b32 v3, s22
	v_mov_b32_e32 v6, s26
	s_cmp_eq_u64 s[18:19], 0
	s_cbranch_scc1 .LBB17_477
; %bb.474:
	s_bitcmp0_b32 s26, 0
	s_cbranch_scc1 .LBB17_476
; %bb.475:
	v_and_b32_e32 v3, 1, v5
	v_cmp_gt_f32_e32 vcc_lo, s22, v1
	s_waitcnt lgkmcnt(0)
	v_cmp_lt_f32_e64 s3, s23, v2
	s_delay_alu instid0(VALU_DEP_3) | instskip(NEXT) | instid1(VALU_DEP_1)
	v_cmp_eq_u32_e64 s2, 1, v3
	s_and_b32 vcc_lo, s2, vcc_lo
	v_cndmask_b32_e64 v5, s26, 1, s2
	v_cndmask_b32_e32 v1, s22, v1, vcc_lo
	s_and_b32 vcc_lo, s2, s3
	v_cndmask_b32_e32 v2, s23, v2, vcc_lo
.LBB17_476:
	s_waitcnt lgkmcnt(0)
	s_delay_alu instid0(VALU_DEP_1)
	v_dual_mov_b32 v4, v2 :: v_dual_mov_b32 v3, v1
	v_mov_b32_e32 v6, v5
.LBB17_477:
	s_or_b32 s10, s10, exec_lo
.LBB17_478:
	s_or_b32 exec_lo, exec_lo, s4
	s_branch .LBB17_531
.LBB17_479:
	s_cmp_eq_u32 s27, 4
	s_cbranch_scc0 .LBB17_530
; %bb.480:
	s_lshl_b32 s2, s20, 10
	s_mul_i32 s3, s20, 0x3000
	s_lshr_b64 s[6:7], s[18:19], 10
	s_mul_hi_u32 s5, s2, 12
	s_mov_b32 s21, 0
	s_add_u32 s4, s16, s3
	s_addc_u32 s5, s17, s5
	s_cmp_lg_u64 s[6:7], s[20:21]
	s_cbranch_scc0 .LBB17_532
; %bb.481:
	s_waitcnt lgkmcnt(0)
	v_mad_u64_u32 v[7:8], null, v0, 12, s[4:5]
	s_mov_b32 s3, exec_lo
	s_delay_alu instid0(VALU_DEP_1) | instskip(NEXT) | instid1(VALU_DEP_2)
	v_add_co_u32 v1, vcc_lo, 0x1000, v7
	v_add_co_ci_u32_e32 v2, vcc_lo, 0, v8, vcc_lo
	v_add_co_u32 v13, vcc_lo, 0x2000, v7
	global_load_u8 v12, v[7:8], off
	v_add_co_ci_u32_e32 v14, vcc_lo, 0, v8, vcc_lo
	s_clause 0x5
	global_load_u8 v11, v[7:8], off offset:3072
	global_load_b64 v[5:6], v[7:8], off offset:3076
	global_load_u8 v10, v[1:2], off offset:2048
	global_load_b64 v[3:4], v[1:2], off offset:2052
	;; [unrolled: 2-line block ×3, first 2 shown]
	s_waitcnt vmcnt(6)
	v_and_b32_e32 v13, 1, v12
	s_delay_alu instid0(VALU_DEP_1)
	v_cmpx_eq_u32_e32 1, v13
	s_cbranch_execz .LBB17_485
; %bb.482:
	global_load_b64 v[7:8], v[7:8], off offset:4
	s_waitcnt vmcnt(6)
	v_and_b32_e32 v11, 1, v11
	s_mov_b32 s6, exec_lo
	s_delay_alu instid0(VALU_DEP_1)
	v_cmpx_eq_u32_e32 1, v11
	s_cbranch_execz .LBB17_484
; %bb.483:
	s_waitcnt vmcnt(0)
	v_cmp_lt_f32_e32 vcc_lo, v5, v7
	v_dual_mov_b32 v12, 1 :: v_dual_cndmask_b32 v7, v7, v5
	v_cmp_lt_f32_e32 vcc_lo, v8, v6
	v_cndmask_b32_e32 v8, v8, v6, vcc_lo
.LBB17_484:
	s_or_b32 exec_lo, exec_lo, s6
	s_delay_alu instid0(VALU_DEP_3) | instskip(SKIP_1) | instid1(VALU_DEP_2)
	v_mov_b32_e32 v11, v12
	s_waitcnt vmcnt(0)
	v_dual_mov_b32 v5, v7 :: v_dual_mov_b32 v6, v8
.LBB17_485:
	s_or_b32 exec_lo, exec_lo, s3
	s_waitcnt vmcnt(5)
	v_and_b32_e32 v7, 1, v11
	s_mov_b32 s3, exec_lo
	s_delay_alu instid0(VALU_DEP_1)
	v_cmpx_eq_u32_e32 1, v7
	s_cbranch_execz .LBB17_489
; %bb.486:
	s_waitcnt vmcnt(3)
	v_and_b32_e32 v7, 1, v10
	s_mov_b32 s6, exec_lo
	s_delay_alu instid0(VALU_DEP_1)
	v_cmpx_eq_u32_e32 1, v7
	s_cbranch_execz .LBB17_488
; %bb.487:
	s_waitcnt vmcnt(2)
	v_cmp_lt_f32_e32 vcc_lo, v3, v5
	v_mov_b32_e32 v11, 1
	v_cndmask_b32_e32 v5, v5, v3, vcc_lo
	v_cmp_lt_f32_e32 vcc_lo, v6, v4
	v_cndmask_b32_e32 v6, v6, v4, vcc_lo
.LBB17_488:
	s_or_b32 exec_lo, exec_lo, s6
	s_waitcnt vmcnt(2)
	v_dual_mov_b32 v10, v11 :: v_dual_mov_b32 v3, v5
	s_delay_alu instid0(VALU_DEP_2)
	v_mov_b32_e32 v4, v6
.LBB17_489:
	s_or_b32 exec_lo, exec_lo, s3
	s_waitcnt vmcnt(3)
	s_delay_alu instid0(VALU_DEP_2) | instskip(SKIP_1) | instid1(VALU_DEP_1)
	v_and_b32_e32 v5, 1, v10
	s_mov_b32 s3, exec_lo
	v_cmpx_eq_u32_e32 1, v5
	s_cbranch_execz .LBB17_493
; %bb.490:
	s_waitcnt vmcnt(1)
	v_and_b32_e32 v5, 1, v9
	s_mov_b32 s6, exec_lo
	s_delay_alu instid0(VALU_DEP_1)
	v_cmpx_eq_u32_e32 1, v5
	s_cbranch_execz .LBB17_492
; %bb.491:
	s_waitcnt vmcnt(0)
	v_cmp_lt_f32_e32 vcc_lo, v1, v3
	v_dual_mov_b32 v10, 1 :: v_dual_cndmask_b32 v3, v3, v1
	v_cmp_lt_f32_e32 vcc_lo, v4, v2
	v_cndmask_b32_e32 v4, v4, v2, vcc_lo
.LBB17_492:
	s_or_b32 exec_lo, exec_lo, s6
	s_waitcnt vmcnt(0)
	s_delay_alu instid0(VALU_DEP_1)
	v_dual_mov_b32 v9, v10 :: v_dual_mov_b32 v2, v4
	v_mov_b32_e32 v1, v3
.LBB17_493:
	s_or_b32 exec_lo, exec_lo, s3
	s_waitcnt vmcnt(1)
	s_delay_alu instid0(VALU_DEP_2) | instskip(SKIP_3) | instid1(VALU_DEP_2)
	v_and_b32_e32 v3, 0xff, v9
	s_waitcnt vmcnt(0)
	v_mov_b32_dpp v4, v1 quad_perm:[1,0,3,2] row_mask:0xf bank_mask:0xf
	s_mov_b32 s3, exec_lo
	v_mov_b32_dpp v5, v3 quad_perm:[1,0,3,2] row_mask:0xf bank_mask:0xf
	v_mov_b32_dpp v3, v2 quad_perm:[1,0,3,2] row_mask:0xf bank_mask:0xf
	s_delay_alu instid0(VALU_DEP_2) | instskip(NEXT) | instid1(VALU_DEP_1)
	v_and_b32_e32 v6, 1, v5
	v_cmpx_eq_u32_e32 1, v6
	s_xor_b32 s3, exec_lo, s3
	s_cbranch_execz .LBB17_497
; %bb.494:
	v_and_b32_e32 v6, 1, v9
	s_mov_b32 s6, exec_lo
	s_delay_alu instid0(VALU_DEP_1)
	v_cmpx_eq_u32_e32 1, v6
; %bb.495:
	v_cmp_gt_f32_e32 vcc_lo, v2, v3
	v_mov_b32_e32 v5, 1
	v_cndmask_b32_e32 v3, v3, v2, vcc_lo
	v_cmp_lt_f32_e32 vcc_lo, v1, v4
	v_cndmask_b32_e32 v4, v4, v1, vcc_lo
; %bb.496:
	s_or_b32 exec_lo, exec_lo, s6
	s_delay_alu instid0(VALU_DEP_3) | instskip(NEXT) | instid1(VALU_DEP_2)
	v_dual_mov_b32 v9, v5 :: v_dual_mov_b32 v2, v3
	v_mov_b32_e32 v1, v4
.LBB17_497:
	s_or_b32 exec_lo, exec_lo, s3
	s_delay_alu instid0(VALU_DEP_2) | instskip(NEXT) | instid1(VALU_DEP_2)
	v_and_b32_e32 v3, 0xff, v9
	v_mov_b32_dpp v4, v1 quad_perm:[2,3,0,1] row_mask:0xf bank_mask:0xf
	s_mov_b32 s3, exec_lo
	s_delay_alu instid0(VALU_DEP_2) | instskip(SKIP_1) | instid1(VALU_DEP_2)
	v_mov_b32_dpp v5, v3 quad_perm:[2,3,0,1] row_mask:0xf bank_mask:0xf
	v_mov_b32_dpp v3, v2 quad_perm:[2,3,0,1] row_mask:0xf bank_mask:0xf
	v_and_b32_e32 v6, 1, v5
	s_delay_alu instid0(VALU_DEP_1)
	v_cmpx_eq_u32_e32 1, v6
	s_cbranch_execz .LBB17_501
; %bb.498:
	v_and_b32_e32 v6, 1, v9
	s_mov_b32 s6, exec_lo
	s_delay_alu instid0(VALU_DEP_1)
	v_cmpx_eq_u32_e32 1, v6
; %bb.499:
	v_cmp_gt_f32_e32 vcc_lo, v2, v3
	v_mov_b32_e32 v5, 1
	v_cndmask_b32_e32 v3, v3, v2, vcc_lo
	v_cmp_lt_f32_e32 vcc_lo, v1, v4
	v_cndmask_b32_e32 v4, v4, v1, vcc_lo
; %bb.500:
	s_or_b32 exec_lo, exec_lo, s6
	s_delay_alu instid0(VALU_DEP_3) | instskip(NEXT) | instid1(VALU_DEP_2)
	v_dual_mov_b32 v9, v5 :: v_dual_mov_b32 v2, v3
	v_mov_b32_e32 v1, v4
.LBB17_501:
	s_or_b32 exec_lo, exec_lo, s3
	s_delay_alu instid0(VALU_DEP_2) | instskip(NEXT) | instid1(VALU_DEP_2)
	v_and_b32_e32 v3, 0xff, v9
	v_mov_b32_dpp v4, v1 row_ror:4 row_mask:0xf bank_mask:0xf
	s_mov_b32 s3, exec_lo
	s_delay_alu instid0(VALU_DEP_2) | instskip(SKIP_1) | instid1(VALU_DEP_2)
	v_mov_b32_dpp v5, v3 row_ror:4 row_mask:0xf bank_mask:0xf
	v_mov_b32_dpp v3, v2 row_ror:4 row_mask:0xf bank_mask:0xf
	v_and_b32_e32 v6, 1, v5
	s_delay_alu instid0(VALU_DEP_1)
	v_cmpx_eq_u32_e32 1, v6
	s_cbranch_execz .LBB17_505
; %bb.502:
	v_and_b32_e32 v6, 1, v9
	s_mov_b32 s6, exec_lo
	s_delay_alu instid0(VALU_DEP_1)
	v_cmpx_eq_u32_e32 1, v6
; %bb.503:
	v_cmp_gt_f32_e32 vcc_lo, v2, v3
	v_mov_b32_e32 v5, 1
	v_cndmask_b32_e32 v3, v3, v2, vcc_lo
	v_cmp_lt_f32_e32 vcc_lo, v1, v4
	v_cndmask_b32_e32 v4, v4, v1, vcc_lo
; %bb.504:
	s_or_b32 exec_lo, exec_lo, s6
	s_delay_alu instid0(VALU_DEP_3) | instskip(NEXT) | instid1(VALU_DEP_2)
	v_dual_mov_b32 v9, v5 :: v_dual_mov_b32 v2, v3
	v_mov_b32_e32 v1, v4
.LBB17_505:
	s_or_b32 exec_lo, exec_lo, s3
	s_delay_alu instid0(VALU_DEP_2) | instskip(NEXT) | instid1(VALU_DEP_2)
	v_and_b32_e32 v3, 0xff, v9
	v_mov_b32_dpp v4, v1 row_ror:8 row_mask:0xf bank_mask:0xf
	s_mov_b32 s3, exec_lo
	s_delay_alu instid0(VALU_DEP_2) | instskip(SKIP_1) | instid1(VALU_DEP_2)
	v_mov_b32_dpp v5, v3 row_ror:8 row_mask:0xf bank_mask:0xf
	v_mov_b32_dpp v3, v2 row_ror:8 row_mask:0xf bank_mask:0xf
	v_and_b32_e32 v6, 1, v5
	s_delay_alu instid0(VALU_DEP_1)
	v_cmpx_eq_u32_e32 1, v6
	s_cbranch_execz .LBB17_509
; %bb.506:
	v_and_b32_e32 v6, 1, v9
	s_mov_b32 s6, exec_lo
	s_delay_alu instid0(VALU_DEP_1)
	v_cmpx_eq_u32_e32 1, v6
; %bb.507:
	v_cmp_gt_f32_e32 vcc_lo, v2, v3
	v_mov_b32_e32 v5, 1
	v_cndmask_b32_e32 v3, v3, v2, vcc_lo
	v_cmp_lt_f32_e32 vcc_lo, v1, v4
	v_cndmask_b32_e32 v4, v4, v1, vcc_lo
; %bb.508:
	s_or_b32 exec_lo, exec_lo, s6
	s_delay_alu instid0(VALU_DEP_3) | instskip(NEXT) | instid1(VALU_DEP_2)
	v_dual_mov_b32 v9, v5 :: v_dual_mov_b32 v2, v3
	v_mov_b32_e32 v1, v4
.LBB17_509:
	s_or_b32 exec_lo, exec_lo, s3
	s_delay_alu instid0(VALU_DEP_2)
	v_and_b32_e32 v3, 0xff, v9
	ds_swizzle_b32 v4, v1 offset:swizzle(BROADCAST,32,15)
	s_mov_b32 s3, exec_lo
	ds_swizzle_b32 v5, v3 offset:swizzle(BROADCAST,32,15)
	ds_swizzle_b32 v3, v2 offset:swizzle(BROADCAST,32,15)
	s_waitcnt lgkmcnt(1)
	v_and_b32_e32 v6, 1, v5
	s_delay_alu instid0(VALU_DEP_1)
	v_cmpx_eq_u32_e32 1, v6
	s_cbranch_execz .LBB17_513
; %bb.510:
	v_and_b32_e32 v6, 1, v9
	s_mov_b32 s6, exec_lo
	s_delay_alu instid0(VALU_DEP_1)
	v_cmpx_eq_u32_e32 1, v6
	s_cbranch_execz .LBB17_512
; %bb.511:
	s_waitcnt lgkmcnt(0)
	v_cmp_gt_f32_e32 vcc_lo, v2, v3
	v_mov_b32_e32 v5, 1
	v_cndmask_b32_e32 v3, v3, v2, vcc_lo
	v_cmp_lt_f32_e32 vcc_lo, v1, v4
	v_cndmask_b32_e32 v4, v4, v1, vcc_lo
.LBB17_512:
	s_or_b32 exec_lo, exec_lo, s6
	s_waitcnt lgkmcnt(0)
	v_dual_mov_b32 v9, v5 :: v_dual_mov_b32 v2, v3
	s_delay_alu instid0(VALU_DEP_2)
	v_mov_b32_e32 v1, v4
.LBB17_513:
	s_or_b32 exec_lo, exec_lo, s3
	s_waitcnt lgkmcnt(0)
	s_delay_alu instid0(VALU_DEP_2)
	v_dual_mov_b32 v4, 0 :: v_dual_and_b32 v3, 0xff, v9
	s_mov_b32 s3, exec_lo
	ds_bpermute_b32 v5, v4, v3 offset:124
	ds_bpermute_b32 v1, v4, v1 offset:124
	;; [unrolled: 1-line block ×3, first 2 shown]
	v_mbcnt_lo_u32_b32 v3, -1, 0
	s_delay_alu instid0(VALU_DEP_1)
	v_cmpx_eq_u32_e32 0, v3
	s_cbranch_execz .LBB17_515
; %bb.514:
	v_lshrrev_b32_e32 v4, 5, v0
	s_delay_alu instid0(VALU_DEP_1)
	v_mul_u32_u24_e32 v4, 12, v4
	s_waitcnt lgkmcnt(2)
	ds_store_b8 v4, v5 offset:384
	s_waitcnt lgkmcnt(1)
	ds_store_2addr_b32 v4, v1, v2 offset0:97 offset1:98
.LBB17_515:
	s_or_b32 exec_lo, exec_lo, s3
	s_delay_alu instid0(SALU_CYCLE_1)
	s_mov_b32 s3, exec_lo
	s_waitcnt lgkmcnt(0)
	s_barrier
	buffer_gl0_inv
	v_cmpx_gt_u32_e32 32, v0
	s_cbranch_execz .LBB17_529
; %bb.516:
	v_and_b32_e32 v4, 7, v3
	s_mov_b32 s6, exec_lo
	s_delay_alu instid0(VALU_DEP_1) | instskip(SKIP_4) | instid1(VALU_DEP_1)
	v_mul_u32_u24_e32 v1, 12, v4
	v_cmp_ne_u32_e32 vcc_lo, 7, v4
	ds_load_u8 v7, v1 offset:384
	ds_load_2addr_b32 v[1:2], v1 offset0:97 offset1:98
	v_add_co_ci_u32_e32 v5, vcc_lo, 0, v3, vcc_lo
	v_lshlrev_b32_e32 v5, 2, v5
	s_waitcnt lgkmcnt(1)
	v_and_b32_e32 v8, 0xff, v7
	s_waitcnt lgkmcnt(0)
	ds_bpermute_b32 v6, v5, v1
	ds_bpermute_b32 v10, v5, v8
	;; [unrolled: 1-line block ×3, first 2 shown]
	v_and_b32_e32 v8, 1, v7
	s_delay_alu instid0(VALU_DEP_1)
	v_cmpx_eq_u32_e32 1, v8
	s_cbranch_execz .LBB17_520
; %bb.517:
	s_waitcnt lgkmcnt(1)
	v_and_b32_e32 v8, 1, v10
	s_mov_b32 s7, exec_lo
	s_delay_alu instid0(VALU_DEP_1)
	v_cmpx_eq_u32_e32 1, v8
	s_cbranch_execz .LBB17_519
; %bb.518:
	v_cmp_gt_f32_e32 vcc_lo, v1, v6
	v_mov_b32_e32 v7, 1
	v_cndmask_b32_e32 v1, v1, v6, vcc_lo
	s_waitcnt lgkmcnt(0)
	v_cmp_lt_f32_e32 vcc_lo, v2, v5
	v_cndmask_b32_e32 v2, v2, v5, vcc_lo
.LBB17_519:
	s_or_b32 exec_lo, exec_lo, s7
	s_waitcnt lgkmcnt(0)
	s_delay_alu instid0(VALU_DEP_1)
	v_dual_mov_b32 v10, v7 :: v_dual_mov_b32 v5, v2
	v_mov_b32_e32 v6, v1
.LBB17_520:
	s_or_b32 exec_lo, exec_lo, s6
	v_cmp_gt_u32_e32 vcc_lo, 6, v4
	s_waitcnt lgkmcnt(1)
	v_and_b32_e32 v2, 0xff, v10
	s_mov_b32 s6, exec_lo
	v_cndmask_b32_e64 v1, 0, 1, vcc_lo
	s_delay_alu instid0(VALU_DEP_1) | instskip(NEXT) | instid1(VALU_DEP_1)
	v_lshlrev_b32_e32 v1, 1, v1
	v_add_lshl_u32 v1, v1, v3, 2
	ds_bpermute_b32 v9, v1, v2
	ds_bpermute_b32 v8, v1, v6
	s_waitcnt lgkmcnt(2)
	ds_bpermute_b32 v7, v1, v5
	v_and_b32_e32 v1, 1, v10
	s_delay_alu instid0(VALU_DEP_1)
	v_cmpx_eq_u32_e32 1, v1
	s_cbranch_execz .LBB17_524
; %bb.521:
	s_waitcnt lgkmcnt(2)
	v_and_b32_e32 v1, 1, v9
	s_mov_b32 s7, exec_lo
	s_delay_alu instid0(VALU_DEP_1)
	v_cmpx_eq_u32_e32 1, v1
	s_cbranch_execz .LBB17_523
; %bb.522:
	s_waitcnt lgkmcnt(1)
	v_cmp_gt_f32_e32 vcc_lo, v6, v8
	v_mov_b32_e32 v10, 1
	v_cndmask_b32_e32 v6, v6, v8, vcc_lo
	s_waitcnt lgkmcnt(0)
	v_cmp_lt_f32_e32 vcc_lo, v5, v7
	v_cndmask_b32_e32 v5, v5, v7, vcc_lo
.LBB17_523:
	s_or_b32 exec_lo, exec_lo, s7
	v_mov_b32_e32 v9, v10
	s_waitcnt lgkmcnt(0)
	s_delay_alu instid0(VALU_DEP_2)
	v_dual_mov_b32 v8, v6 :: v_dual_mov_b32 v7, v5
.LBB17_524:
	s_or_b32 exec_lo, exec_lo, s6
	v_cmp_gt_u32_e32 vcc_lo, 4, v4
	s_waitcnt lgkmcnt(2)
	v_and_b32_e32 v2, 0xff, v9
	s_mov_b32 s6, exec_lo
	v_cndmask_b32_e64 v1, 0, 1, vcc_lo
	s_delay_alu instid0(VALU_DEP_1) | instskip(NEXT) | instid1(VALU_DEP_1)
	v_lshlrev_b32_e32 v1, 2, v1
	v_add_lshl_u32 v4, v1, v3, 2
	ds_bpermute_b32 v3, v4, v2
	s_waitcnt lgkmcnt(2)
	ds_bpermute_b32 v1, v4, v8
	s_waitcnt lgkmcnt(2)
	ds_bpermute_b32 v2, v4, v7
	v_and_b32_e32 v4, 1, v9
	s_delay_alu instid0(VALU_DEP_1)
	v_cmpx_eq_u32_e32 1, v4
	s_cbranch_execz .LBB17_528
; %bb.525:
	s_waitcnt lgkmcnt(2)
	v_and_b32_e32 v3, 1, v3
	s_mov_b32 s7, exec_lo
	s_delay_alu instid0(VALU_DEP_1)
	v_cmpx_eq_u32_e32 1, v3
	s_cbranch_execz .LBB17_527
; %bb.526:
	s_waitcnt lgkmcnt(1)
	v_cmp_gt_f32_e32 vcc_lo, v8, v1
	v_dual_mov_b32 v9, 1 :: v_dual_cndmask_b32 v8, v8, v1
	s_waitcnt lgkmcnt(0)
	v_cmp_lt_f32_e32 vcc_lo, v7, v2
	v_cndmask_b32_e32 v7, v7, v2, vcc_lo
.LBB17_527:
	s_or_b32 exec_lo, exec_lo, s7
	s_waitcnt lgkmcnt(0)
	s_delay_alu instid0(VALU_DEP_1)
	v_dual_mov_b32 v3, v9 :: v_dual_mov_b32 v2, v7
	v_mov_b32_e32 v1, v8
.LBB17_528:
	s_or_b32 exec_lo, exec_lo, s6
	s_waitcnt lgkmcnt(2)
	s_delay_alu instid0(VALU_DEP_2)
	v_and_b32_e32 v5, 0xff, v3
.LBB17_529:
	s_or_b32 exec_lo, exec_lo, s3
	s_branch .LBB17_612
.LBB17_530:
                                        ; implicit-def: $vgpr4
                                        ; implicit-def: $vgpr6
.LBB17_531:
	s_branch .LBB17_776
.LBB17_532:
                                        ; implicit-def: $vgpr2
                                        ; implicit-def: $vgpr5
	s_cbranch_execz .LBB17_612
; %bb.533:
	s_waitcnt lgkmcnt(0)
	v_dual_mov_b32 v2, 0 :: v_dual_mov_b32 v1, 0
	v_dual_mov_b32 v8, 0 :: v_dual_mov_b32 v9, 0
	s_sub_i32 s6, s18, s2
	s_mov_b32 s2, exec_lo
	v_cmpx_gt_u32_e64 s6, v0
; %bb.534:
	v_mad_u64_u32 v[1:2], null, v0, 12, s[4:5]
	s_clause 0x1
	global_load_u8 v9, v[1:2], off
	global_load_b64 v[1:2], v[1:2], off offset:4
; %bb.535:
	s_or_b32 exec_lo, exec_lo, s2
	v_or_b32_e32 v3, 0x100, v0
	v_dual_mov_b32 v7, 0 :: v_dual_mov_b32 v12, 0
	s_delay_alu instid0(VALU_DEP_2) | instskip(NEXT) | instid1(VALU_DEP_1)
	v_cmp_gt_u32_e64 s3, s6, v3
	s_and_saveexec_b32 s2, s3
; %bb.536:
	v_mad_u64_u32 v[3:4], null, v0, 12, s[4:5]
	s_clause 0x1
	global_load_u8 v12, v[3:4], off offset:3072
	global_load_b64 v[7:8], v[3:4], off offset:3076
; %bb.537:
	s_or_b32 exec_lo, exec_lo, s2
	v_or_b32_e32 v3, 0x200, v0
	v_dual_mov_b32 v6, 0 :: v_dual_mov_b32 v5, 0
	v_dual_mov_b32 v10, 0 :: v_dual_mov_b32 v11, 0
	s_delay_alu instid0(VALU_DEP_3) | instskip(NEXT) | instid1(VALU_DEP_1)
	v_cmp_gt_u32_e64 s2, s6, v3
	s_and_saveexec_b32 s7, s2
; %bb.538:
	v_mad_u64_u32 v[4:5], null, v3, 12, s[4:5]
	s_clause 0x1
	global_load_u8 v11, v[4:5], off
	global_load_b64 v[5:6], v[4:5], off offset:4
; %bb.539:
	s_or_b32 exec_lo, exec_lo, s7
	v_or_b32_e32 v13, 0x300, v0
	v_dual_mov_b32 v3, 0 :: v_dual_mov_b32 v4, 0
	s_delay_alu instid0(VALU_DEP_2)
	v_cmp_gt_u32_e32 vcc_lo, s6, v13
	s_and_saveexec_b32 s7, vcc_lo
	s_cbranch_execnz .LBB17_543
; %bb.540:
	s_or_b32 exec_lo, exec_lo, s7
	s_and_saveexec_b32 s4, s3
	s_cbranch_execnz .LBB17_544
.LBB17_541:
	s_or_b32 exec_lo, exec_lo, s4
	s_and_saveexec_b32 s3, s2
	s_cbranch_execnz .LBB17_549
.LBB17_542:
	s_or_b32 exec_lo, exec_lo, s3
	s_and_saveexec_b32 s2, vcc_lo
	s_cbranch_execnz .LBB17_554
	s_branch .LBB17_559
.LBB17_543:
	v_mad_u64_u32 v[3:4], null, v13, 12, s[4:5]
	s_clause 0x1
	global_load_u8 v10, v[3:4], off
	global_load_b64 v[3:4], v[3:4], off offset:4
	s_or_b32 exec_lo, exec_lo, s7
	s_and_saveexec_b32 s4, s3
	s_cbranch_execz .LBB17_541
.LBB17_544:
	s_waitcnt vmcnt(1)
	v_and_b32_e32 v13, 1, v9
	s_mov_b32 s5, exec_lo
	s_delay_alu instid0(VALU_DEP_1)
	v_cmpx_eq_u32_e32 1, v13
	s_cbranch_execz .LBB17_548
; %bb.545:
	v_and_b32_e32 v12, 1, v12
	s_mov_b32 s7, exec_lo
	s_delay_alu instid0(VALU_DEP_1)
	v_cmpx_eq_u32_e32 1, v12
	s_cbranch_execz .LBB17_547
; %bb.546:
	s_waitcnt vmcnt(0)
	v_cmp_lt_f32_e64 s3, v2, v8
	v_mov_b32_e32 v9, 1
	s_delay_alu instid0(VALU_DEP_2) | instskip(SKIP_1) | instid1(VALU_DEP_1)
	v_cndmask_b32_e64 v2, v2, v8, s3
	v_cmp_lt_f32_e64 s3, v7, v1
	v_cndmask_b32_e64 v1, v1, v7, s3
.LBB17_547:
	s_or_b32 exec_lo, exec_lo, s7
	s_waitcnt vmcnt(0)
	s_delay_alu instid0(VALU_DEP_1)
	v_dual_mov_b32 v8, v2 :: v_dual_mov_b32 v7, v1
	v_mov_b32_e32 v12, v9
.LBB17_548:
	s_or_b32 exec_lo, exec_lo, s5
	s_delay_alu instid0(VALU_DEP_1)
	v_mov_b32_e32 v9, v12
	s_waitcnt vmcnt(0)
	v_dual_mov_b32 v1, v7 :: v_dual_mov_b32 v2, v8
	s_or_b32 exec_lo, exec_lo, s4
	s_and_saveexec_b32 s3, s2
	s_cbranch_execz .LBB17_542
.LBB17_549:
	s_waitcnt vmcnt(0)
	v_and_b32_e32 v7, 1, v9
	s_mov_b32 s4, exec_lo
	s_delay_alu instid0(VALU_DEP_1)
	v_cmpx_eq_u32_e32 1, v7
	s_cbranch_execz .LBB17_553
; %bb.550:
	v_and_b32_e32 v7, 1, v11
	s_mov_b32 s5, exec_lo
	s_delay_alu instid0(VALU_DEP_1)
	v_cmpx_eq_u32_e32 1, v7
; %bb.551:
	v_cmp_lt_f32_e64 s2, v2, v6
	v_mov_b32_e32 v9, 1
	s_delay_alu instid0(VALU_DEP_2) | instskip(SKIP_1) | instid1(VALU_DEP_1)
	v_cndmask_b32_e64 v2, v2, v6, s2
	v_cmp_lt_f32_e64 s2, v5, v1
	v_cndmask_b32_e64 v1, v1, v5, s2
; %bb.552:
	s_or_b32 exec_lo, exec_lo, s5
	s_delay_alu instid0(VALU_DEP_1)
	v_dual_mov_b32 v6, v2 :: v_dual_mov_b32 v5, v1
	v_mov_b32_e32 v11, v9
.LBB17_553:
	s_or_b32 exec_lo, exec_lo, s4
	s_delay_alu instid0(VALU_DEP_1) | instskip(NEXT) | instid1(VALU_DEP_3)
	v_dual_mov_b32 v9, v11 :: v_dual_mov_b32 v2, v6
	v_mov_b32_e32 v1, v5
	s_or_b32 exec_lo, exec_lo, s3
	s_and_saveexec_b32 s2, vcc_lo
	s_cbranch_execz .LBB17_559
.LBB17_554:
	s_waitcnt vmcnt(0)
	v_and_b32_e32 v5, 1, v9
	s_mov_b32 s3, exec_lo
	s_delay_alu instid0(VALU_DEP_1)
	v_cmpx_eq_u32_e32 1, v5
	s_cbranch_execz .LBB17_558
; %bb.555:
	v_and_b32_e32 v5, 1, v10
	s_mov_b32 s4, exec_lo
	s_delay_alu instid0(VALU_DEP_1)
	v_cmpx_eq_u32_e32 1, v5
; %bb.556:
	v_cmp_lt_f32_e32 vcc_lo, v2, v4
	v_dual_mov_b32 v9, 1 :: v_dual_cndmask_b32 v2, v2, v4
	v_cmp_lt_f32_e32 vcc_lo, v3, v1
	v_cndmask_b32_e32 v1, v1, v3, vcc_lo
; %bb.557:
	s_or_b32 exec_lo, exec_lo, s4
	s_delay_alu instid0(VALU_DEP_1)
	v_dual_mov_b32 v4, v2 :: v_dual_mov_b32 v3, v1
	v_mov_b32_e32 v10, v9
.LBB17_558:
	s_or_b32 exec_lo, exec_lo, s3
	s_delay_alu instid0(VALU_DEP_1) | instskip(NEXT) | instid1(VALU_DEP_3)
	v_dual_mov_b32 v9, v10 :: v_dual_mov_b32 v2, v4
	v_mov_b32_e32 v1, v3
.LBB17_559:
	s_or_b32 exec_lo, exec_lo, s2
	s_waitcnt vmcnt(0)
	v_mbcnt_lo_u32_b32 v3, -1, 0
	v_and_b32_e32 v6, 0xff, v9
	s_min_u32 s2, s6, 0x100
	s_delay_alu instid0(VALU_DEP_2) | instskip(SKIP_2) | instid1(VALU_DEP_1)
	v_cmp_ne_u32_e32 vcc_lo, 31, v3
	v_add_nc_u32_e32 v5, 1, v3
	v_add_co_ci_u32_e32 v4, vcc_lo, 0, v3, vcc_lo
	v_lshlrev_b32_e32 v4, 2, v4
	ds_bpermute_b32 v10, v4, v6
	ds_bpermute_b32 v7, v4, v1
	;; [unrolled: 1-line block ×3, first 2 shown]
	v_and_b32_e32 v4, 0xe0, v0
	s_delay_alu instid0(VALU_DEP_1) | instskip(NEXT) | instid1(VALU_DEP_1)
	v_sub_nc_u32_e64 v4, s2, v4 clamp
	v_cmp_lt_u32_e32 vcc_lo, v5, v4
	v_mov_b32_e32 v5, v6
	s_and_saveexec_b32 s3, vcc_lo
	s_delay_alu instid0(SALU_CYCLE_1)
	s_xor_b32 s3, exec_lo, s3
	s_cbranch_execz .LBB17_565
; %bb.560:
	v_and_b32_e32 v5, 1, v9
	s_mov_b32 s4, exec_lo
	s_delay_alu instid0(VALU_DEP_1)
	v_cmpx_eq_u32_e32 1, v5
	s_cbranch_execz .LBB17_564
; %bb.561:
	s_waitcnt lgkmcnt(2)
	v_and_b32_e32 v5, 1, v10
	s_mov_b32 s5, exec_lo
	s_delay_alu instid0(VALU_DEP_1)
	v_cmpx_eq_u32_e32 1, v5
	s_cbranch_execz .LBB17_563
; %bb.562:
	s_waitcnt lgkmcnt(1)
	v_cmp_gt_f32_e32 vcc_lo, v1, v7
	v_dual_mov_b32 v6, 1 :: v_dual_cndmask_b32 v1, v1, v7
	s_waitcnt lgkmcnt(0)
	v_cmp_lt_f32_e32 vcc_lo, v2, v8
	v_cndmask_b32_e32 v2, v2, v8, vcc_lo
.LBB17_563:
	s_or_b32 exec_lo, exec_lo, s5
	s_waitcnt lgkmcnt(1)
	v_dual_mov_b32 v10, v6 :: v_dual_mov_b32 v7, v1
	s_waitcnt lgkmcnt(0)
	v_mov_b32_e32 v8, v2
.LBB17_564:
	s_or_b32 exec_lo, exec_lo, s4
	s_waitcnt lgkmcnt(0)
	s_delay_alu instid0(VALU_DEP_1)
	v_dual_mov_b32 v2, v8 :: v_dual_and_b32 v5, 0xff, v10
	v_dual_mov_b32 v1, v7 :: v_dual_mov_b32 v6, v10
.LBB17_565:
	s_or_b32 exec_lo, exec_lo, s3
	v_cmp_gt_u32_e32 vcc_lo, 30, v3
	s_waitcnt lgkmcnt(2)
	v_add_nc_u32_e32 v10, 2, v3
	s_mov_b32 s3, exec_lo
	s_waitcnt lgkmcnt(1)
	v_cndmask_b32_e64 v7, 0, 1, vcc_lo
	s_delay_alu instid0(VALU_DEP_1) | instskip(NEXT) | instid1(VALU_DEP_1)
	v_lshlrev_b32_e32 v7, 1, v7
	v_add_lshl_u32 v7, v7, v3, 2
	ds_bpermute_b32 v9, v7, v5
	s_waitcnt lgkmcnt(1)
	ds_bpermute_b32 v8, v7, v1
	ds_bpermute_b32 v7, v7, v2
	v_cmpx_lt_u32_e64 v10, v4
	s_cbranch_execz .LBB17_571
; %bb.566:
	v_and_b32_e32 v5, 1, v6
	s_mov_b32 s4, exec_lo
	s_delay_alu instid0(VALU_DEP_1)
	v_cmpx_eq_u32_e32 1, v5
	s_cbranch_execz .LBB17_570
; %bb.567:
	s_waitcnt lgkmcnt(2)
	v_and_b32_e32 v5, 1, v9
	s_mov_b32 s5, exec_lo
	s_delay_alu instid0(VALU_DEP_1)
	v_cmpx_eq_u32_e32 1, v5
	s_cbranch_execz .LBB17_569
; %bb.568:
	s_waitcnt lgkmcnt(1)
	v_cmp_gt_f32_e32 vcc_lo, v1, v8
	v_dual_mov_b32 v6, 1 :: v_dual_cndmask_b32 v1, v1, v8
	s_waitcnt lgkmcnt(0)
	v_cmp_lt_f32_e32 vcc_lo, v2, v7
	v_cndmask_b32_e32 v2, v2, v7, vcc_lo
.LBB17_569:
	s_or_b32 exec_lo, exec_lo, s5
	s_waitcnt lgkmcnt(1)
	v_dual_mov_b32 v9, v6 :: v_dual_mov_b32 v8, v1
	s_waitcnt lgkmcnt(0)
	v_mov_b32_e32 v7, v2
.LBB17_570:
	s_or_b32 exec_lo, exec_lo, s4
	s_waitcnt lgkmcnt(0)
	s_delay_alu instid0(VALU_DEP_1)
	v_dual_mov_b32 v2, v7 :: v_dual_and_b32 v5, 0xff, v9
	v_dual_mov_b32 v1, v8 :: v_dual_mov_b32 v6, v9
.LBB17_571:
	s_or_b32 exec_lo, exec_lo, s3
	v_cmp_gt_u32_e32 vcc_lo, 28, v3
	v_add_nc_u32_e32 v10, 4, v3
	s_mov_b32 s3, exec_lo
	s_waitcnt lgkmcnt(0)
	v_cndmask_b32_e64 v7, 0, 1, vcc_lo
	s_delay_alu instid0(VALU_DEP_1) | instskip(NEXT) | instid1(VALU_DEP_1)
	v_lshlrev_b32_e32 v7, 2, v7
	v_add_lshl_u32 v7, v7, v3, 2
	ds_bpermute_b32 v9, v7, v5
	ds_bpermute_b32 v8, v7, v1
	ds_bpermute_b32 v7, v7, v2
	v_cmpx_lt_u32_e64 v10, v4
	s_cbranch_execz .LBB17_577
; %bb.572:
	v_and_b32_e32 v5, 1, v6
	s_mov_b32 s4, exec_lo
	s_delay_alu instid0(VALU_DEP_1)
	v_cmpx_eq_u32_e32 1, v5
	s_cbranch_execz .LBB17_576
; %bb.573:
	s_waitcnt lgkmcnt(2)
	v_and_b32_e32 v5, 1, v9
	s_mov_b32 s5, exec_lo
	s_delay_alu instid0(VALU_DEP_1)
	v_cmpx_eq_u32_e32 1, v5
	s_cbranch_execz .LBB17_575
; %bb.574:
	s_waitcnt lgkmcnt(1)
	v_cmp_gt_f32_e32 vcc_lo, v1, v8
	v_dual_mov_b32 v6, 1 :: v_dual_cndmask_b32 v1, v1, v8
	s_waitcnt lgkmcnt(0)
	v_cmp_lt_f32_e32 vcc_lo, v2, v7
	v_cndmask_b32_e32 v2, v2, v7, vcc_lo
.LBB17_575:
	s_or_b32 exec_lo, exec_lo, s5
	s_waitcnt lgkmcnt(1)
	v_dual_mov_b32 v9, v6 :: v_dual_mov_b32 v8, v1
	s_waitcnt lgkmcnt(0)
	v_mov_b32_e32 v7, v2
.LBB17_576:
	s_or_b32 exec_lo, exec_lo, s4
	s_waitcnt lgkmcnt(0)
	s_delay_alu instid0(VALU_DEP_1)
	v_dual_mov_b32 v2, v7 :: v_dual_and_b32 v5, 0xff, v9
	v_dual_mov_b32 v1, v8 :: v_dual_mov_b32 v6, v9
.LBB17_577:
	s_or_b32 exec_lo, exec_lo, s3
	v_cmp_gt_u32_e32 vcc_lo, 24, v3
	v_add_nc_u32_e32 v10, 8, v3
	s_mov_b32 s3, exec_lo
	s_waitcnt lgkmcnt(0)
	v_cndmask_b32_e64 v7, 0, 1, vcc_lo
	s_delay_alu instid0(VALU_DEP_1) | instskip(NEXT) | instid1(VALU_DEP_1)
	v_lshlrev_b32_e32 v7, 3, v7
	v_add_lshl_u32 v7, v7, v3, 2
	ds_bpermute_b32 v9, v7, v5
	;; [unrolled: 47-line block ×3, first 2 shown]
	ds_bpermute_b32 v7, v8, v1
	ds_bpermute_b32 v8, v8, v2
	v_cmpx_lt_u32_e64 v10, v4
	s_cbranch_execz .LBB17_589
; %bb.584:
	v_and_b32_e32 v4, 1, v6
	s_mov_b32 s4, exec_lo
	s_delay_alu instid0(VALU_DEP_1)
	v_cmpx_eq_u32_e32 1, v4
	s_cbranch_execz .LBB17_588
; %bb.585:
	s_waitcnt lgkmcnt(2)
	v_and_b32_e32 v4, 1, v9
	s_mov_b32 s5, exec_lo
	s_delay_alu instid0(VALU_DEP_1)
	v_cmpx_eq_u32_e32 1, v4
	s_cbranch_execz .LBB17_587
; %bb.586:
	s_waitcnt lgkmcnt(1)
	v_cmp_gt_f32_e32 vcc_lo, v1, v7
	v_dual_mov_b32 v6, 1 :: v_dual_cndmask_b32 v1, v1, v7
	s_waitcnt lgkmcnt(0)
	v_cmp_lt_f32_e32 vcc_lo, v2, v8
	v_cndmask_b32_e32 v2, v2, v8, vcc_lo
.LBB17_587:
	s_or_b32 exec_lo, exec_lo, s5
	v_mov_b32_e32 v9, v6
	s_waitcnt lgkmcnt(0)
	s_delay_alu instid0(VALU_DEP_2)
	v_dual_mov_b32 v7, v1 :: v_dual_mov_b32 v8, v2
.LBB17_588:
	s_or_b32 exec_lo, exec_lo, s4
	s_waitcnt lgkmcnt(2)
	v_dual_mov_b32 v6, v9 :: v_dual_and_b32 v5, 0xff, v9
	s_waitcnt lgkmcnt(0)
	v_dual_mov_b32 v2, v8 :: v_dual_mov_b32 v1, v7
.LBB17_589:
	s_or_b32 exec_lo, exec_lo, s3
	s_delay_alu instid0(SALU_CYCLE_1)
	s_mov_b32 s3, exec_lo
	v_cmpx_eq_u32_e32 0, v3
	s_cbranch_execz .LBB17_591
; %bb.590:
	v_lshrrev_b32_e32 v4, 5, v0
	s_delay_alu instid0(VALU_DEP_1)
	v_mul_u32_u24_e32 v4, 12, v4
	ds_store_b8 v4, v6
	ds_store_2addr_b32 v4, v1, v2 offset0:1 offset1:2
.LBB17_591:
	s_or_b32 exec_lo, exec_lo, s3
	s_delay_alu instid0(SALU_CYCLE_1)
	s_mov_b32 s3, exec_lo
	s_waitcnt lgkmcnt(0)
	s_barrier
	buffer_gl0_inv
	v_cmpx_gt_u32_e32 8, v0
	s_cbranch_execz .LBB17_611
; %bb.592:
	v_mul_u32_u24_e32 v1, 12, v3
	s_add_i32 s2, s2, 31
	ds_load_u8 v4, v1
	ds_load_2addr_b32 v[1:2], v1 offset0:1 offset1:2
	v_and_b32_e32 v6, 7, v3
	s_lshr_b32 s2, s2, 5
	s_delay_alu instid0(VALU_DEP_1) | instskip(SKIP_1) | instid1(VALU_DEP_1)
	v_cmp_ne_u32_e32 vcc_lo, 7, v6
	v_add_co_ci_u32_e32 v5, vcc_lo, 0, v3, vcc_lo
	v_lshlrev_b32_e32 v7, 2, v5
	s_waitcnt lgkmcnt(0)
	v_dual_mov_b32 v8, v2 :: v_dual_and_b32 v5, 0xff, v4
	ds_bpermute_b32 v9, v7, v1
	ds_bpermute_b32 v10, v7, v2
	;; [unrolled: 1-line block ×3, first 2 shown]
	v_add_nc_u32_e32 v7, 1, v6
	s_delay_alu instid0(VALU_DEP_1)
	v_cmp_gt_u32_e32 vcc_lo, s2, v7
	v_mov_b32_e32 v7, v1
	s_and_saveexec_b32 s4, vcc_lo
	s_cbranch_execz .LBB17_598
; %bb.593:
	v_and_b32_e32 v5, 1, v4
	s_mov_b32 s5, exec_lo
	s_delay_alu instid0(VALU_DEP_1)
	v_cmpx_eq_u32_e32 1, v5
	s_cbranch_execz .LBB17_597
; %bb.594:
	s_waitcnt lgkmcnt(0)
	v_and_b32_e32 v5, 1, v11
	s_mov_b32 s6, exec_lo
	s_delay_alu instid0(VALU_DEP_1)
	v_cmpx_eq_u32_e32 1, v5
; %bb.595:
	v_cmp_gt_f32_e32 vcc_lo, v1, v9
	v_dual_mov_b32 v4, 1 :: v_dual_cndmask_b32 v1, v1, v9
	v_cmp_lt_f32_e32 vcc_lo, v2, v10
	v_cndmask_b32_e32 v2, v2, v10, vcc_lo
; %bb.596:
	s_or_b32 exec_lo, exec_lo, s6
	s_delay_alu instid0(VALU_DEP_1)
	v_dual_mov_b32 v11, v4 :: v_dual_mov_b32 v10, v2
	v_mov_b32_e32 v9, v1
.LBB17_597:
	s_or_b32 exec_lo, exec_lo, s5
	s_waitcnt lgkmcnt(0)
	s_delay_alu instid0(VALU_DEP_2) | instskip(NEXT) | instid1(VALU_DEP_2)
	v_dual_mov_b32 v8, v10 :: v_dual_and_b32 v5, 0xff, v11
	v_dual_mov_b32 v7, v9 :: v_dual_mov_b32 v4, v11
	v_dual_mov_b32 v2, v10 :: v_dual_mov_b32 v1, v9
.LBB17_598:
	s_or_b32 exec_lo, exec_lo, s4
	v_cmp_gt_u32_e32 vcc_lo, 6, v6
	v_add_nc_u32_e32 v12, 2, v6
	s_mov_b32 s4, exec_lo
	s_waitcnt lgkmcnt(2)
	v_cndmask_b32_e64 v9, 0, 1, vcc_lo
	s_delay_alu instid0(VALU_DEP_1) | instskip(SKIP_1) | instid1(VALU_DEP_1)
	v_lshlrev_b32_e32 v9, 1, v9
	s_waitcnt lgkmcnt(1)
	v_add_lshl_u32 v10, v9, v3, 2
	s_waitcnt lgkmcnt(0)
	ds_bpermute_b32 v11, v10, v5
	ds_bpermute_b32 v9, v10, v7
	;; [unrolled: 1-line block ×3, first 2 shown]
	v_cmpx_gt_u32_e64 s2, v12
	s_cbranch_execz .LBB17_604
; %bb.599:
	v_and_b32_e32 v5, 1, v4
	s_mov_b32 s5, exec_lo
	s_delay_alu instid0(VALU_DEP_1)
	v_cmpx_eq_u32_e32 1, v5
	s_cbranch_execz .LBB17_603
; %bb.600:
	s_waitcnt lgkmcnt(2)
	v_and_b32_e32 v5, 1, v11
	s_mov_b32 s6, exec_lo
	s_delay_alu instid0(VALU_DEP_1)
	v_cmpx_eq_u32_e32 1, v5
	s_cbranch_execz .LBB17_602
; %bb.601:
	s_waitcnt lgkmcnt(1)
	v_cmp_gt_f32_e32 vcc_lo, v1, v9
	v_dual_mov_b32 v4, 1 :: v_dual_cndmask_b32 v1, v1, v9
	s_waitcnt lgkmcnt(0)
	v_cmp_lt_f32_e32 vcc_lo, v2, v10
	v_cndmask_b32_e32 v2, v2, v10, vcc_lo
.LBB17_602:
	s_or_b32 exec_lo, exec_lo, s6
	s_waitcnt lgkmcnt(0)
	s_delay_alu instid0(VALU_DEP_1)
	v_dual_mov_b32 v11, v4 :: v_dual_mov_b32 v10, v2
	v_mov_b32_e32 v9, v1
.LBB17_603:
	s_or_b32 exec_lo, exec_lo, s5
	s_waitcnt lgkmcnt(0)
	s_delay_alu instid0(VALU_DEP_2) | instskip(NEXT) | instid1(VALU_DEP_2)
	v_dual_mov_b32 v8, v10 :: v_dual_and_b32 v5, 0xff, v11
	v_dual_mov_b32 v7, v9 :: v_dual_mov_b32 v4, v11
	v_dual_mov_b32 v2, v10 :: v_dual_mov_b32 v1, v9
.LBB17_604:
	s_or_b32 exec_lo, exec_lo, s4
	v_cmp_gt_u32_e32 vcc_lo, 4, v6
	v_add_nc_u32_e32 v6, 4, v6
	s_waitcnt lgkmcnt(1)
	v_cndmask_b32_e64 v9, 0, 1, vcc_lo
	s_delay_alu instid0(VALU_DEP_2) | instskip(NEXT) | instid1(VALU_DEP_2)
	v_cmp_gt_u32_e32 vcc_lo, s2, v6
	v_lshlrev_b32_e32 v9, 2, v9
	s_waitcnt lgkmcnt(0)
	s_delay_alu instid0(VALU_DEP_1)
	v_add_lshl_u32 v10, v9, v3, 2
	ds_bpermute_b32 v9, v10, v5
	ds_bpermute_b32 v3, v10, v7
	;; [unrolled: 1-line block ×3, first 2 shown]
	s_and_saveexec_b32 s2, vcc_lo
	s_cbranch_execz .LBB17_610
; %bb.605:
	v_and_b32_e32 v5, 1, v4
	s_mov_b32 s4, exec_lo
	s_delay_alu instid0(VALU_DEP_1)
	v_cmpx_eq_u32_e32 1, v5
	s_cbranch_execz .LBB17_609
; %bb.606:
	s_waitcnt lgkmcnt(2)
	v_and_b32_e32 v5, 1, v9
	s_mov_b32 s5, exec_lo
	s_delay_alu instid0(VALU_DEP_1)
	v_cmpx_eq_u32_e32 1, v5
	s_cbranch_execz .LBB17_608
; %bb.607:
	s_waitcnt lgkmcnt(1)
	v_cmp_gt_f32_e32 vcc_lo, v1, v3
	v_dual_mov_b32 v4, 1 :: v_dual_cndmask_b32 v1, v1, v3
	s_waitcnt lgkmcnt(0)
	v_cmp_lt_f32_e32 vcc_lo, v2, v7
	v_cndmask_b32_e32 v2, v2, v7, vcc_lo
.LBB17_608:
	s_or_b32 exec_lo, exec_lo, s5
	v_mov_b32_e32 v9, v4
	s_waitcnt lgkmcnt(1)
	v_mov_b32_e32 v3, v1
	s_waitcnt lgkmcnt(0)
	v_mov_b32_e32 v7, v2
.LBB17_609:
	s_or_b32 exec_lo, exec_lo, s4
	s_waitcnt lgkmcnt(0)
	s_delay_alu instid0(VALU_DEP_1)
	v_dual_mov_b32 v2, v7 :: v_dual_and_b32 v5, 0xff, v9
	v_mov_b32_e32 v1, v3
.LBB17_610:
	s_or_b32 exec_lo, exec_lo, s2
.LBB17_611:
	s_delay_alu instid0(SALU_CYCLE_1)
	s_or_b32 exec_lo, exec_lo, s3
.LBB17_612:
                                        ; implicit-def: $vgpr4
                                        ; implicit-def: $vgpr6
	s_delay_alu instid0(SALU_CYCLE_1)
	s_mov_b32 s2, exec_lo
	v_cmpx_eq_u32_e32 0, v0
	s_xor_b32 s4, exec_lo, s2
	s_cbranch_execz .LBB17_618
; %bb.613:
	s_waitcnt lgkmcnt(1)
	v_dual_mov_b32 v4, s23 :: v_dual_mov_b32 v3, s22
	v_mov_b32_e32 v6, s26
	s_cmp_eq_u64 s[18:19], 0
	s_cbranch_scc1 .LBB17_617
; %bb.614:
	s_bitcmp0_b32 s26, 0
	s_cbranch_scc1 .LBB17_616
; %bb.615:
	v_and_b32_e32 v3, 1, v5
	v_cmp_gt_f32_e32 vcc_lo, s22, v1
	s_waitcnt lgkmcnt(0)
	v_cmp_lt_f32_e64 s3, s23, v2
	s_delay_alu instid0(VALU_DEP_3) | instskip(NEXT) | instid1(VALU_DEP_1)
	v_cmp_eq_u32_e64 s2, 1, v3
	s_and_b32 vcc_lo, s2, vcc_lo
	v_cndmask_b32_e64 v5, s26, 1, s2
	v_cndmask_b32_e32 v1, s22, v1, vcc_lo
	s_and_b32 vcc_lo, s2, s3
	v_cndmask_b32_e32 v2, s23, v2, vcc_lo
.LBB17_616:
	s_waitcnt lgkmcnt(0)
	s_delay_alu instid0(VALU_DEP_1)
	v_dual_mov_b32 v4, v2 :: v_dual_mov_b32 v3, v1
	v_mov_b32_e32 v6, v5
.LBB17_617:
	s_or_b32 s10, s10, exec_lo
.LBB17_618:
	s_or_b32 exec_lo, exec_lo, s4
	s_branch .LBB17_776
.LBB17_619:
	s_cmp_gt_i32 s27, 1
	s_cbranch_scc0 .LBB17_663
; %bb.620:
	s_cmp_eq_u32 s27, 2
	s_cbranch_scc0 .LBB17_664
; %bb.621:
	s_lshl_b32 s4, s20, 9
	s_mul_i32 s2, s20, 0x1800
	s_lshr_b64 s[6:7], s[18:19], 9
	s_mul_hi_u32 s3, s4, 12
	s_mov_b32 s21, 0
	s_add_u32 s2, s16, s2
	s_addc_u32 s3, s17, s3
	s_cmp_lg_u64 s[6:7], s[20:21]
	s_cbranch_scc0 .LBB17_665
; %bb.622:
	s_waitcnt lgkmcnt(1)
	v_mad_u64_u32 v[3:4], null, v0, 12, s[2:3]
	s_mov_b32 s5, exec_lo
	s_clause 0x1
	global_load_u8 v6, v[3:4], off
	global_load_u8 v5, v[3:4], off offset:3072
	s_waitcnt lgkmcnt(0)
	global_load_b64 v[1:2], v[3:4], off offset:3076
	s_waitcnt vmcnt(2)
	v_and_b32_e32 v7, 1, v6
	s_delay_alu instid0(VALU_DEP_1)
	v_cmpx_eq_u32_e32 1, v7
	s_cbranch_execz .LBB17_626
; %bb.623:
	global_load_b64 v[3:4], v[3:4], off offset:4
	s_waitcnt vmcnt(2)
	v_and_b32_e32 v5, 1, v5
	s_mov_b32 s6, exec_lo
	s_delay_alu instid0(VALU_DEP_1)
	v_cmpx_eq_u32_e32 1, v5
	s_cbranch_execz .LBB17_625
; %bb.624:
	s_waitcnt vmcnt(0)
	v_cmp_lt_f32_e32 vcc_lo, v1, v3
	v_dual_mov_b32 v6, 1 :: v_dual_cndmask_b32 v3, v3, v1
	v_cmp_lt_f32_e32 vcc_lo, v4, v2
	v_cndmask_b32_e32 v4, v4, v2, vcc_lo
.LBB17_625:
	s_or_b32 exec_lo, exec_lo, s6
	s_waitcnt vmcnt(0)
	s_delay_alu instid0(VALU_DEP_1)
	v_dual_mov_b32 v5, v6 :: v_dual_mov_b32 v2, v4
	v_mov_b32_e32 v1, v3
.LBB17_626:
	s_or_b32 exec_lo, exec_lo, s5
	s_waitcnt vmcnt(1)
	s_delay_alu instid0(VALU_DEP_2) | instskip(SKIP_3) | instid1(VALU_DEP_2)
	v_and_b32_e32 v3, 0xff, v5
	s_waitcnt vmcnt(0)
	v_mov_b32_dpp v4, v1 quad_perm:[1,0,3,2] row_mask:0xf bank_mask:0xf
	s_mov_b32 s5, exec_lo
	v_mov_b32_dpp v6, v3 quad_perm:[1,0,3,2] row_mask:0xf bank_mask:0xf
	v_mov_b32_dpp v3, v2 quad_perm:[1,0,3,2] row_mask:0xf bank_mask:0xf
	s_delay_alu instid0(VALU_DEP_2) | instskip(NEXT) | instid1(VALU_DEP_1)
	v_and_b32_e32 v7, 1, v6
	v_cmpx_eq_u32_e32 1, v7
	s_cbranch_execz .LBB17_630
; %bb.627:
	v_and_b32_e32 v5, 1, v5
	s_mov_b32 s6, exec_lo
	s_delay_alu instid0(VALU_DEP_1)
	v_cmpx_eq_u32_e32 1, v5
; %bb.628:
	v_cmp_gt_f32_e32 vcc_lo, v2, v3
	v_dual_mov_b32 v6, 1 :: v_dual_cndmask_b32 v3, v3, v2
	v_cmp_lt_f32_e32 vcc_lo, v1, v4
	v_cndmask_b32_e32 v4, v4, v1, vcc_lo
; %bb.629:
	s_or_b32 exec_lo, exec_lo, s6
	s_delay_alu instid0(VALU_DEP_3) | instskip(NEXT) | instid1(VALU_DEP_2)
	v_dual_mov_b32 v5, v6 :: v_dual_mov_b32 v2, v3
	v_mov_b32_e32 v1, v4
.LBB17_630:
	s_or_b32 exec_lo, exec_lo, s5
	s_delay_alu instid0(VALU_DEP_2) | instskip(NEXT) | instid1(VALU_DEP_2)
	v_and_b32_e32 v3, 0xff, v5
	v_mov_b32_dpp v4, v1 quad_perm:[2,3,0,1] row_mask:0xf bank_mask:0xf
	s_mov_b32 s5, exec_lo
	s_delay_alu instid0(VALU_DEP_2) | instskip(SKIP_1) | instid1(VALU_DEP_2)
	v_mov_b32_dpp v6, v3 quad_perm:[2,3,0,1] row_mask:0xf bank_mask:0xf
	v_mov_b32_dpp v3, v2 quad_perm:[2,3,0,1] row_mask:0xf bank_mask:0xf
	v_and_b32_e32 v7, 1, v6
	s_delay_alu instid0(VALU_DEP_1)
	v_cmpx_eq_u32_e32 1, v7
	s_cbranch_execz .LBB17_634
; %bb.631:
	v_and_b32_e32 v5, 1, v5
	s_mov_b32 s6, exec_lo
	s_delay_alu instid0(VALU_DEP_1)
	v_cmpx_eq_u32_e32 1, v5
; %bb.632:
	v_cmp_gt_f32_e32 vcc_lo, v2, v3
	v_dual_mov_b32 v6, 1 :: v_dual_cndmask_b32 v3, v3, v2
	v_cmp_lt_f32_e32 vcc_lo, v1, v4
	v_cndmask_b32_e32 v4, v4, v1, vcc_lo
; %bb.633:
	s_or_b32 exec_lo, exec_lo, s6
	s_delay_alu instid0(VALU_DEP_3) | instskip(NEXT) | instid1(VALU_DEP_2)
	v_dual_mov_b32 v5, v6 :: v_dual_mov_b32 v2, v3
	v_mov_b32_e32 v1, v4
.LBB17_634:
	s_or_b32 exec_lo, exec_lo, s5
	s_delay_alu instid0(VALU_DEP_2) | instskip(NEXT) | instid1(VALU_DEP_2)
	v_and_b32_e32 v3, 0xff, v5
	v_mov_b32_dpp v4, v1 row_ror:4 row_mask:0xf bank_mask:0xf
	s_mov_b32 s5, exec_lo
	s_delay_alu instid0(VALU_DEP_2) | instskip(SKIP_1) | instid1(VALU_DEP_2)
	v_mov_b32_dpp v6, v3 row_ror:4 row_mask:0xf bank_mask:0xf
	v_mov_b32_dpp v3, v2 row_ror:4 row_mask:0xf bank_mask:0xf
	v_and_b32_e32 v7, 1, v6
	s_delay_alu instid0(VALU_DEP_1)
	v_cmpx_eq_u32_e32 1, v7
	s_cbranch_execz .LBB17_638
; %bb.635:
	v_and_b32_e32 v5, 1, v5
	s_mov_b32 s6, exec_lo
	s_delay_alu instid0(VALU_DEP_1)
	v_cmpx_eq_u32_e32 1, v5
; %bb.636:
	v_cmp_gt_f32_e32 vcc_lo, v2, v3
	v_dual_mov_b32 v6, 1 :: v_dual_cndmask_b32 v3, v3, v2
	v_cmp_lt_f32_e32 vcc_lo, v1, v4
	v_cndmask_b32_e32 v4, v4, v1, vcc_lo
; %bb.637:
	s_or_b32 exec_lo, exec_lo, s6
	s_delay_alu instid0(VALU_DEP_3) | instskip(NEXT) | instid1(VALU_DEP_2)
	v_dual_mov_b32 v5, v6 :: v_dual_mov_b32 v2, v3
	v_mov_b32_e32 v1, v4
.LBB17_638:
	s_or_b32 exec_lo, exec_lo, s5
	s_delay_alu instid0(VALU_DEP_2) | instskip(NEXT) | instid1(VALU_DEP_2)
	v_and_b32_e32 v3, 0xff, v5
	v_mov_b32_dpp v4, v1 row_ror:8 row_mask:0xf bank_mask:0xf
	s_mov_b32 s5, exec_lo
	s_delay_alu instid0(VALU_DEP_2) | instskip(SKIP_1) | instid1(VALU_DEP_2)
	v_mov_b32_dpp v6, v3 row_ror:8 row_mask:0xf bank_mask:0xf
	v_mov_b32_dpp v3, v2 row_ror:8 row_mask:0xf bank_mask:0xf
	v_and_b32_e32 v7, 1, v6
	s_delay_alu instid0(VALU_DEP_1)
	v_cmpx_eq_u32_e32 1, v7
	s_cbranch_execz .LBB17_642
; %bb.639:
	v_and_b32_e32 v5, 1, v5
	s_mov_b32 s6, exec_lo
	s_delay_alu instid0(VALU_DEP_1)
	v_cmpx_eq_u32_e32 1, v5
; %bb.640:
	v_cmp_gt_f32_e32 vcc_lo, v2, v3
	v_dual_mov_b32 v6, 1 :: v_dual_cndmask_b32 v3, v3, v2
	v_cmp_lt_f32_e32 vcc_lo, v1, v4
	v_cndmask_b32_e32 v4, v4, v1, vcc_lo
; %bb.641:
	s_or_b32 exec_lo, exec_lo, s6
	s_delay_alu instid0(VALU_DEP_3) | instskip(NEXT) | instid1(VALU_DEP_2)
	v_dual_mov_b32 v5, v6 :: v_dual_mov_b32 v2, v3
	v_mov_b32_e32 v1, v4
.LBB17_642:
	s_or_b32 exec_lo, exec_lo, s5
	s_delay_alu instid0(VALU_DEP_2)
	v_and_b32_e32 v3, 0xff, v5
	ds_swizzle_b32 v4, v1 offset:swizzle(BROADCAST,32,15)
	s_mov_b32 s5, exec_lo
	ds_swizzle_b32 v6, v3 offset:swizzle(BROADCAST,32,15)
	ds_swizzle_b32 v3, v2 offset:swizzle(BROADCAST,32,15)
	s_waitcnt lgkmcnt(1)
	v_and_b32_e32 v7, 1, v6
	s_delay_alu instid0(VALU_DEP_1)
	v_cmpx_eq_u32_e32 1, v7
	s_cbranch_execz .LBB17_646
; %bb.643:
	v_and_b32_e32 v5, 1, v5
	s_mov_b32 s6, exec_lo
	s_delay_alu instid0(VALU_DEP_1)
	v_cmpx_eq_u32_e32 1, v5
	s_cbranch_execz .LBB17_645
; %bb.644:
	s_waitcnt lgkmcnt(0)
	v_cmp_gt_f32_e32 vcc_lo, v2, v3
	v_dual_mov_b32 v6, 1 :: v_dual_cndmask_b32 v3, v3, v2
	v_cmp_lt_f32_e32 vcc_lo, v1, v4
	v_cndmask_b32_e32 v4, v4, v1, vcc_lo
.LBB17_645:
	s_or_b32 exec_lo, exec_lo, s6
	s_waitcnt lgkmcnt(0)
	v_dual_mov_b32 v5, v6 :: v_dual_mov_b32 v2, v3
	s_delay_alu instid0(VALU_DEP_2)
	v_mov_b32_e32 v1, v4
.LBB17_646:
	s_or_b32 exec_lo, exec_lo, s5
	s_waitcnt lgkmcnt(0)
	s_delay_alu instid0(VALU_DEP_2)
	v_dual_mov_b32 v4, 0 :: v_dual_and_b32 v3, 0xff, v5
	s_mov_b32 s5, exec_lo
	ds_bpermute_b32 v5, v4, v3 offset:124
	ds_bpermute_b32 v1, v4, v1 offset:124
	;; [unrolled: 1-line block ×3, first 2 shown]
	v_mbcnt_lo_u32_b32 v3, -1, 0
	s_delay_alu instid0(VALU_DEP_1)
	v_cmpx_eq_u32_e32 0, v3
	s_cbranch_execz .LBB17_648
; %bb.647:
	v_lshrrev_b32_e32 v4, 5, v0
	s_delay_alu instid0(VALU_DEP_1)
	v_mul_u32_u24_e32 v4, 12, v4
	s_waitcnt lgkmcnt(2)
	ds_store_b8 v4, v5 offset:288
	s_waitcnt lgkmcnt(1)
	ds_store_2addr_b32 v4, v1, v2 offset0:73 offset1:74
.LBB17_648:
	s_or_b32 exec_lo, exec_lo, s5
	s_delay_alu instid0(SALU_CYCLE_1)
	s_mov_b32 s5, exec_lo
	s_waitcnt lgkmcnt(0)
	s_barrier
	buffer_gl0_inv
	v_cmpx_gt_u32_e32 32, v0
	s_cbranch_execz .LBB17_662
; %bb.649:
	v_and_b32_e32 v4, 7, v3
	s_mov_b32 s6, exec_lo
	s_delay_alu instid0(VALU_DEP_1) | instskip(SKIP_4) | instid1(VALU_DEP_1)
	v_mul_u32_u24_e32 v1, 12, v4
	v_cmp_ne_u32_e32 vcc_lo, 7, v4
	ds_load_u8 v7, v1 offset:288
	ds_load_2addr_b32 v[1:2], v1 offset0:73 offset1:74
	v_add_co_ci_u32_e32 v5, vcc_lo, 0, v3, vcc_lo
	v_lshlrev_b32_e32 v5, 2, v5
	s_waitcnt lgkmcnt(1)
	v_and_b32_e32 v8, 0xff, v7
	s_waitcnt lgkmcnt(0)
	ds_bpermute_b32 v6, v5, v1
	ds_bpermute_b32 v10, v5, v8
	;; [unrolled: 1-line block ×3, first 2 shown]
	v_and_b32_e32 v8, 1, v7
	s_delay_alu instid0(VALU_DEP_1)
	v_cmpx_eq_u32_e32 1, v8
	s_cbranch_execz .LBB17_653
; %bb.650:
	s_waitcnt lgkmcnt(1)
	v_and_b32_e32 v8, 1, v10
	s_mov_b32 s7, exec_lo
	s_delay_alu instid0(VALU_DEP_1)
	v_cmpx_eq_u32_e32 1, v8
	s_cbranch_execz .LBB17_652
; %bb.651:
	v_cmp_gt_f32_e32 vcc_lo, v1, v6
	v_mov_b32_e32 v7, 1
	v_cndmask_b32_e32 v1, v1, v6, vcc_lo
	s_waitcnt lgkmcnt(0)
	v_cmp_lt_f32_e32 vcc_lo, v2, v5
	v_cndmask_b32_e32 v2, v2, v5, vcc_lo
.LBB17_652:
	s_or_b32 exec_lo, exec_lo, s7
	s_waitcnt lgkmcnt(0)
	s_delay_alu instid0(VALU_DEP_1)
	v_dual_mov_b32 v10, v7 :: v_dual_mov_b32 v5, v2
	v_mov_b32_e32 v6, v1
.LBB17_653:
	s_or_b32 exec_lo, exec_lo, s6
	v_cmp_gt_u32_e32 vcc_lo, 6, v4
	s_waitcnt lgkmcnt(1)
	v_and_b32_e32 v2, 0xff, v10
	s_mov_b32 s6, exec_lo
	v_cndmask_b32_e64 v1, 0, 1, vcc_lo
	s_delay_alu instid0(VALU_DEP_1) | instskip(NEXT) | instid1(VALU_DEP_1)
	v_lshlrev_b32_e32 v1, 1, v1
	v_add_lshl_u32 v1, v1, v3, 2
	ds_bpermute_b32 v9, v1, v2
	ds_bpermute_b32 v8, v1, v6
	s_waitcnt lgkmcnt(2)
	ds_bpermute_b32 v7, v1, v5
	v_and_b32_e32 v1, 1, v10
	s_delay_alu instid0(VALU_DEP_1)
	v_cmpx_eq_u32_e32 1, v1
	s_cbranch_execz .LBB17_657
; %bb.654:
	s_waitcnt lgkmcnt(2)
	v_and_b32_e32 v1, 1, v9
	s_mov_b32 s7, exec_lo
	s_delay_alu instid0(VALU_DEP_1)
	v_cmpx_eq_u32_e32 1, v1
	s_cbranch_execz .LBB17_656
; %bb.655:
	s_waitcnt lgkmcnt(1)
	v_cmp_gt_f32_e32 vcc_lo, v6, v8
	v_mov_b32_e32 v10, 1
	v_cndmask_b32_e32 v6, v6, v8, vcc_lo
	s_waitcnt lgkmcnt(0)
	v_cmp_lt_f32_e32 vcc_lo, v5, v7
	v_cndmask_b32_e32 v5, v5, v7, vcc_lo
.LBB17_656:
	s_or_b32 exec_lo, exec_lo, s7
	v_mov_b32_e32 v9, v10
	s_waitcnt lgkmcnt(0)
	s_delay_alu instid0(VALU_DEP_2)
	v_dual_mov_b32 v8, v6 :: v_dual_mov_b32 v7, v5
.LBB17_657:
	s_or_b32 exec_lo, exec_lo, s6
	v_cmp_gt_u32_e32 vcc_lo, 4, v4
	s_waitcnt lgkmcnt(2)
	v_and_b32_e32 v2, 0xff, v9
	s_mov_b32 s6, exec_lo
	v_cndmask_b32_e64 v1, 0, 1, vcc_lo
	s_delay_alu instid0(VALU_DEP_1) | instskip(NEXT) | instid1(VALU_DEP_1)
	v_lshlrev_b32_e32 v1, 2, v1
	v_add_lshl_u32 v4, v1, v3, 2
	ds_bpermute_b32 v3, v4, v2
	s_waitcnt lgkmcnt(2)
	ds_bpermute_b32 v1, v4, v8
	s_waitcnt lgkmcnt(2)
	ds_bpermute_b32 v2, v4, v7
	v_and_b32_e32 v4, 1, v9
	s_delay_alu instid0(VALU_DEP_1)
	v_cmpx_eq_u32_e32 1, v4
	s_cbranch_execz .LBB17_661
; %bb.658:
	s_waitcnt lgkmcnt(2)
	v_and_b32_e32 v3, 1, v3
	s_mov_b32 s7, exec_lo
	s_delay_alu instid0(VALU_DEP_1)
	v_cmpx_eq_u32_e32 1, v3
	s_cbranch_execz .LBB17_660
; %bb.659:
	s_waitcnt lgkmcnt(1)
	v_cmp_gt_f32_e32 vcc_lo, v8, v1
	v_dual_mov_b32 v9, 1 :: v_dual_cndmask_b32 v8, v8, v1
	s_waitcnt lgkmcnt(0)
	v_cmp_lt_f32_e32 vcc_lo, v7, v2
	v_cndmask_b32_e32 v7, v7, v2, vcc_lo
.LBB17_660:
	s_or_b32 exec_lo, exec_lo, s7
	s_waitcnt lgkmcnt(0)
	s_delay_alu instid0(VALU_DEP_1)
	v_dual_mov_b32 v3, v9 :: v_dual_mov_b32 v2, v7
	v_mov_b32_e32 v1, v8
.LBB17_661:
	s_or_b32 exec_lo, exec_lo, s6
	s_waitcnt lgkmcnt(2)
	s_delay_alu instid0(VALU_DEP_2)
	v_and_b32_e32 v5, 0xff, v3
.LBB17_662:
	s_or_b32 exec_lo, exec_lo, s5
	s_branch .LBB17_729
.LBB17_663:
                                        ; implicit-def: $vgpr4
                                        ; implicit-def: $vgpr6
	s_cbranch_execnz .LBB17_736
	s_branch .LBB17_776
.LBB17_664:
                                        ; implicit-def: $vgpr4
                                        ; implicit-def: $vgpr6
	s_branch .LBB17_776
.LBB17_665:
                                        ; implicit-def: $vgpr2
                                        ; implicit-def: $vgpr5
	s_cbranch_execz .LBB17_729
; %bb.666:
	s_waitcnt lgkmcnt(0)
	v_dual_mov_b32 v2, 0 :: v_dual_mov_b32 v3, 0
	v_dual_mov_b32 v1, 0 :: v_dual_mov_b32 v6, 0
	s_sub_i32 s4, s18, s4
	s_mov_b32 s5, exec_lo
	v_cmpx_gt_u32_e64 s4, v0
; %bb.667:
	v_mad_u64_u32 v[1:2], null, v0, 12, s[2:3]
	s_clause 0x1
	global_load_u8 v6, v[1:2], off
	global_load_b64 v[1:2], v[1:2], off offset:4
; %bb.668:
	s_or_b32 exec_lo, exec_lo, s5
	v_or_b32_e32 v4, 0x100, v0
	v_mov_b32_e32 v5, 0
	s_delay_alu instid0(VALU_DEP_2)
	v_cmp_gt_u32_e32 vcc_lo, s4, v4
	v_mov_b32_e32 v4, 0
	s_and_saveexec_b32 s5, vcc_lo
; %bb.669:
	v_mad_u64_u32 v[3:4], null, v0, 12, s[2:3]
	s_clause 0x1
	global_load_u8 v5, v[3:4], off offset:3072
	global_load_b64 v[3:4], v[3:4], off offset:3076
; %bb.670:
	s_or_b32 exec_lo, exec_lo, s5
	s_and_saveexec_b32 s2, vcc_lo
	s_cbranch_execz .LBB17_676
; %bb.671:
	s_waitcnt vmcnt(1)
	v_and_b32_e32 v7, 1, v6
	s_mov_b32 s3, exec_lo
	s_delay_alu instid0(VALU_DEP_1)
	v_cmpx_eq_u32_e32 1, v7
	s_cbranch_execz .LBB17_675
; %bb.672:
	v_and_b32_e32 v5, 1, v5
	s_mov_b32 s5, exec_lo
	s_delay_alu instid0(VALU_DEP_1)
	v_cmpx_eq_u32_e32 1, v5
	s_cbranch_execz .LBB17_674
; %bb.673:
	s_waitcnt vmcnt(0)
	v_cmp_lt_f32_e32 vcc_lo, v2, v4
	v_mov_b32_e32 v6, 1
	v_cndmask_b32_e32 v2, v2, v4, vcc_lo
	v_cmp_lt_f32_e32 vcc_lo, v3, v1
	v_cndmask_b32_e32 v1, v1, v3, vcc_lo
.LBB17_674:
	s_or_b32 exec_lo, exec_lo, s5
	s_waitcnt vmcnt(0)
	s_delay_alu instid0(VALU_DEP_1)
	v_dual_mov_b32 v4, v2 :: v_dual_mov_b32 v3, v1
	v_mov_b32_e32 v5, v6
.LBB17_675:
	s_or_b32 exec_lo, exec_lo, s3
	s_waitcnt vmcnt(0)
	s_delay_alu instid0(VALU_DEP_1)
	v_dual_mov_b32 v6, v5 :: v_dual_mov_b32 v1, v3
	v_mov_b32_e32 v2, v4
.LBB17_676:
	s_or_b32 exec_lo, exec_lo, s2
	s_waitcnt vmcnt(0)
	v_mbcnt_lo_u32_b32 v3, -1, 0
	v_and_b32_e32 v5, 0xff, v6
	s_min_u32 s2, s4, 0x100
	s_mov_b32 s3, exec_lo
	s_delay_alu instid0(VALU_DEP_2) | instskip(SKIP_2) | instid1(VALU_DEP_1)
	v_cmp_ne_u32_e32 vcc_lo, 31, v3
	v_add_nc_u32_e32 v10, 1, v3
	v_add_co_ci_u32_e32 v4, vcc_lo, 0, v3, vcc_lo
	v_lshlrev_b32_e32 v4, 2, v4
	ds_bpermute_b32 v9, v4, v5
	ds_bpermute_b32 v7, v4, v1
	;; [unrolled: 1-line block ×3, first 2 shown]
	v_and_b32_e32 v4, 0xe0, v0
	s_delay_alu instid0(VALU_DEP_1) | instskip(NEXT) | instid1(VALU_DEP_1)
	v_sub_nc_u32_e64 v4, s2, v4 clamp
	v_cmpx_lt_u32_e64 v10, v4
	s_cbranch_execz .LBB17_682
; %bb.677:
	v_and_b32_e32 v5, 1, v6
	s_mov_b32 s4, exec_lo
	s_delay_alu instid0(VALU_DEP_1)
	v_cmpx_eq_u32_e32 1, v5
	s_cbranch_execz .LBB17_681
; %bb.678:
	s_waitcnt lgkmcnt(2)
	v_and_b32_e32 v5, 1, v9
	s_mov_b32 s5, exec_lo
	s_delay_alu instid0(VALU_DEP_1)
	v_cmpx_eq_u32_e32 1, v5
	s_cbranch_execz .LBB17_680
; %bb.679:
	s_waitcnt lgkmcnt(1)
	v_cmp_gt_f32_e32 vcc_lo, v1, v7
	v_dual_mov_b32 v6, 1 :: v_dual_cndmask_b32 v1, v1, v7
	s_waitcnt lgkmcnt(0)
	v_cmp_lt_f32_e32 vcc_lo, v2, v8
	v_cndmask_b32_e32 v2, v2, v8, vcc_lo
.LBB17_680:
	s_or_b32 exec_lo, exec_lo, s5
	v_mov_b32_e32 v9, v6
	s_waitcnt lgkmcnt(0)
	s_delay_alu instid0(VALU_DEP_2)
	v_dual_mov_b32 v7, v1 :: v_dual_mov_b32 v8, v2
.LBB17_681:
	s_or_b32 exec_lo, exec_lo, s4
	s_waitcnt lgkmcnt(0)
	s_delay_alu instid0(VALU_DEP_1) | instskip(NEXT) | instid1(VALU_DEP_2)
	v_dual_mov_b32 v2, v8 :: v_dual_and_b32 v5, 0xff, v9
	v_dual_mov_b32 v1, v7 :: v_dual_mov_b32 v6, v9
.LBB17_682:
	s_or_b32 exec_lo, exec_lo, s3
	v_cmp_gt_u32_e32 vcc_lo, 30, v3
	v_add_nc_u32_e32 v10, 2, v3
	s_mov_b32 s3, exec_lo
	s_waitcnt lgkmcnt(1)
	v_cndmask_b32_e64 v7, 0, 1, vcc_lo
	s_delay_alu instid0(VALU_DEP_1) | instskip(NEXT) | instid1(VALU_DEP_1)
	v_lshlrev_b32_e32 v7, 1, v7
	v_add_lshl_u32 v7, v7, v3, 2
	ds_bpermute_b32 v9, v7, v5
	s_waitcnt lgkmcnt(1)
	ds_bpermute_b32 v8, v7, v1
	ds_bpermute_b32 v7, v7, v2
	v_cmpx_lt_u32_e64 v10, v4
	s_cbranch_execz .LBB17_688
; %bb.683:
	v_and_b32_e32 v5, 1, v6
	s_mov_b32 s4, exec_lo
	s_delay_alu instid0(VALU_DEP_1)
	v_cmpx_eq_u32_e32 1, v5
	s_cbranch_execz .LBB17_687
; %bb.684:
	s_waitcnt lgkmcnt(2)
	v_and_b32_e32 v5, 1, v9
	s_mov_b32 s5, exec_lo
	s_delay_alu instid0(VALU_DEP_1)
	v_cmpx_eq_u32_e32 1, v5
	s_cbranch_execz .LBB17_686
; %bb.685:
	s_waitcnt lgkmcnt(1)
	v_cmp_gt_f32_e32 vcc_lo, v1, v8
	v_dual_mov_b32 v6, 1 :: v_dual_cndmask_b32 v1, v1, v8
	s_waitcnt lgkmcnt(0)
	v_cmp_lt_f32_e32 vcc_lo, v2, v7
	v_cndmask_b32_e32 v2, v2, v7, vcc_lo
.LBB17_686:
	s_or_b32 exec_lo, exec_lo, s5
	s_waitcnt lgkmcnt(1)
	v_dual_mov_b32 v9, v6 :: v_dual_mov_b32 v8, v1
	s_waitcnt lgkmcnt(0)
	v_mov_b32_e32 v7, v2
.LBB17_687:
	s_or_b32 exec_lo, exec_lo, s4
	s_waitcnt lgkmcnt(0)
	s_delay_alu instid0(VALU_DEP_1)
	v_dual_mov_b32 v2, v7 :: v_dual_and_b32 v5, 0xff, v9
	v_dual_mov_b32 v1, v8 :: v_dual_mov_b32 v6, v9
.LBB17_688:
	s_or_b32 exec_lo, exec_lo, s3
	v_cmp_gt_u32_e32 vcc_lo, 28, v3
	v_add_nc_u32_e32 v10, 4, v3
	s_mov_b32 s3, exec_lo
	s_waitcnt lgkmcnt(0)
	v_cndmask_b32_e64 v7, 0, 1, vcc_lo
	s_delay_alu instid0(VALU_DEP_1) | instskip(NEXT) | instid1(VALU_DEP_1)
	v_lshlrev_b32_e32 v7, 2, v7
	v_add_lshl_u32 v7, v7, v3, 2
	ds_bpermute_b32 v9, v7, v5
	ds_bpermute_b32 v8, v7, v1
	ds_bpermute_b32 v7, v7, v2
	v_cmpx_lt_u32_e64 v10, v4
	s_cbranch_execz .LBB17_694
; %bb.689:
	v_and_b32_e32 v5, 1, v6
	s_mov_b32 s4, exec_lo
	s_delay_alu instid0(VALU_DEP_1)
	v_cmpx_eq_u32_e32 1, v5
	s_cbranch_execz .LBB17_693
; %bb.690:
	s_waitcnt lgkmcnt(2)
	v_and_b32_e32 v5, 1, v9
	s_mov_b32 s5, exec_lo
	s_delay_alu instid0(VALU_DEP_1)
	v_cmpx_eq_u32_e32 1, v5
	s_cbranch_execz .LBB17_692
; %bb.691:
	s_waitcnt lgkmcnt(1)
	v_cmp_gt_f32_e32 vcc_lo, v1, v8
	v_dual_mov_b32 v6, 1 :: v_dual_cndmask_b32 v1, v1, v8
	s_waitcnt lgkmcnt(0)
	v_cmp_lt_f32_e32 vcc_lo, v2, v7
	v_cndmask_b32_e32 v2, v2, v7, vcc_lo
.LBB17_692:
	s_or_b32 exec_lo, exec_lo, s5
	s_waitcnt lgkmcnt(1)
	v_dual_mov_b32 v9, v6 :: v_dual_mov_b32 v8, v1
	s_waitcnt lgkmcnt(0)
	v_mov_b32_e32 v7, v2
.LBB17_693:
	s_or_b32 exec_lo, exec_lo, s4
	s_waitcnt lgkmcnt(0)
	s_delay_alu instid0(VALU_DEP_1)
	v_dual_mov_b32 v2, v7 :: v_dual_and_b32 v5, 0xff, v9
	v_dual_mov_b32 v1, v8 :: v_dual_mov_b32 v6, v9
.LBB17_694:
	s_or_b32 exec_lo, exec_lo, s3
	v_cmp_gt_u32_e32 vcc_lo, 24, v3
	v_add_nc_u32_e32 v10, 8, v3
	s_mov_b32 s3, exec_lo
	s_waitcnt lgkmcnt(0)
	v_cndmask_b32_e64 v7, 0, 1, vcc_lo
	s_delay_alu instid0(VALU_DEP_1) | instskip(NEXT) | instid1(VALU_DEP_1)
	v_lshlrev_b32_e32 v7, 3, v7
	v_add_lshl_u32 v7, v7, v3, 2
	ds_bpermute_b32 v9, v7, v5
	;; [unrolled: 47-line block ×3, first 2 shown]
	ds_bpermute_b32 v7, v8, v1
	ds_bpermute_b32 v8, v8, v2
	v_cmpx_lt_u32_e64 v10, v4
	s_cbranch_execz .LBB17_706
; %bb.701:
	v_and_b32_e32 v4, 1, v6
	s_mov_b32 s4, exec_lo
	s_delay_alu instid0(VALU_DEP_1)
	v_cmpx_eq_u32_e32 1, v4
	s_cbranch_execz .LBB17_705
; %bb.702:
	s_waitcnt lgkmcnt(2)
	v_and_b32_e32 v4, 1, v9
	s_mov_b32 s5, exec_lo
	s_delay_alu instid0(VALU_DEP_1)
	v_cmpx_eq_u32_e32 1, v4
	s_cbranch_execz .LBB17_704
; %bb.703:
	s_waitcnt lgkmcnt(1)
	v_cmp_gt_f32_e32 vcc_lo, v1, v7
	v_dual_mov_b32 v6, 1 :: v_dual_cndmask_b32 v1, v1, v7
	s_waitcnt lgkmcnt(0)
	v_cmp_lt_f32_e32 vcc_lo, v2, v8
	v_cndmask_b32_e32 v2, v2, v8, vcc_lo
.LBB17_704:
	s_or_b32 exec_lo, exec_lo, s5
	v_mov_b32_e32 v9, v6
	s_waitcnt lgkmcnt(0)
	s_delay_alu instid0(VALU_DEP_2)
	v_dual_mov_b32 v7, v1 :: v_dual_mov_b32 v8, v2
.LBB17_705:
	s_or_b32 exec_lo, exec_lo, s4
	s_waitcnt lgkmcnt(2)
	v_dual_mov_b32 v6, v9 :: v_dual_and_b32 v5, 0xff, v9
	s_waitcnt lgkmcnt(0)
	v_dual_mov_b32 v2, v8 :: v_dual_mov_b32 v1, v7
.LBB17_706:
	s_or_b32 exec_lo, exec_lo, s3
	s_delay_alu instid0(SALU_CYCLE_1)
	s_mov_b32 s3, exec_lo
	v_cmpx_eq_u32_e32 0, v3
	s_cbranch_execz .LBB17_708
; %bb.707:
	v_lshrrev_b32_e32 v4, 5, v0
	s_delay_alu instid0(VALU_DEP_1)
	v_mul_u32_u24_e32 v4, 12, v4
	ds_store_b8 v4, v6
	ds_store_2addr_b32 v4, v1, v2 offset0:1 offset1:2
.LBB17_708:
	s_or_b32 exec_lo, exec_lo, s3
	s_delay_alu instid0(SALU_CYCLE_1)
	s_mov_b32 s3, exec_lo
	s_waitcnt lgkmcnt(0)
	s_barrier
	buffer_gl0_inv
	v_cmpx_gt_u32_e32 8, v0
	s_cbranch_execz .LBB17_728
; %bb.709:
	v_mul_u32_u24_e32 v1, 12, v3
	s_add_i32 s2, s2, 31
	ds_load_u8 v4, v1
	ds_load_2addr_b32 v[1:2], v1 offset0:1 offset1:2
	v_and_b32_e32 v6, 7, v3
	s_lshr_b32 s2, s2, 5
	s_delay_alu instid0(VALU_DEP_1) | instskip(SKIP_1) | instid1(VALU_DEP_1)
	v_cmp_ne_u32_e32 vcc_lo, 7, v6
	v_add_co_ci_u32_e32 v5, vcc_lo, 0, v3, vcc_lo
	v_lshlrev_b32_e32 v7, 2, v5
	s_waitcnt lgkmcnt(0)
	v_dual_mov_b32 v8, v2 :: v_dual_and_b32 v5, 0xff, v4
	ds_bpermute_b32 v9, v7, v1
	ds_bpermute_b32 v10, v7, v2
	;; [unrolled: 1-line block ×3, first 2 shown]
	v_add_nc_u32_e32 v7, 1, v6
	s_delay_alu instid0(VALU_DEP_1)
	v_cmp_gt_u32_e32 vcc_lo, s2, v7
	v_mov_b32_e32 v7, v1
	s_and_saveexec_b32 s4, vcc_lo
	s_cbranch_execz .LBB17_715
; %bb.710:
	v_and_b32_e32 v5, 1, v4
	s_mov_b32 s5, exec_lo
	s_delay_alu instid0(VALU_DEP_1)
	v_cmpx_eq_u32_e32 1, v5
	s_cbranch_execz .LBB17_714
; %bb.711:
	s_waitcnt lgkmcnt(0)
	v_and_b32_e32 v5, 1, v11
	s_mov_b32 s6, exec_lo
	s_delay_alu instid0(VALU_DEP_1)
	v_cmpx_eq_u32_e32 1, v5
; %bb.712:
	v_cmp_gt_f32_e32 vcc_lo, v1, v9
	v_dual_mov_b32 v4, 1 :: v_dual_cndmask_b32 v1, v1, v9
	v_cmp_lt_f32_e32 vcc_lo, v2, v10
	v_cndmask_b32_e32 v2, v2, v10, vcc_lo
; %bb.713:
	s_or_b32 exec_lo, exec_lo, s6
	s_delay_alu instid0(VALU_DEP_1)
	v_dual_mov_b32 v11, v4 :: v_dual_mov_b32 v10, v2
	v_mov_b32_e32 v9, v1
.LBB17_714:
	s_or_b32 exec_lo, exec_lo, s5
	s_waitcnt lgkmcnt(0)
	s_delay_alu instid0(VALU_DEP_2) | instskip(NEXT) | instid1(VALU_DEP_2)
	v_dual_mov_b32 v8, v10 :: v_dual_and_b32 v5, 0xff, v11
	v_dual_mov_b32 v7, v9 :: v_dual_mov_b32 v4, v11
	v_dual_mov_b32 v2, v10 :: v_dual_mov_b32 v1, v9
.LBB17_715:
	s_or_b32 exec_lo, exec_lo, s4
	v_cmp_gt_u32_e32 vcc_lo, 6, v6
	v_add_nc_u32_e32 v12, 2, v6
	s_mov_b32 s4, exec_lo
	s_waitcnt lgkmcnt(2)
	v_cndmask_b32_e64 v9, 0, 1, vcc_lo
	s_delay_alu instid0(VALU_DEP_1) | instskip(SKIP_1) | instid1(VALU_DEP_1)
	v_lshlrev_b32_e32 v9, 1, v9
	s_waitcnt lgkmcnt(1)
	v_add_lshl_u32 v10, v9, v3, 2
	s_waitcnt lgkmcnt(0)
	ds_bpermute_b32 v11, v10, v5
	ds_bpermute_b32 v9, v10, v7
	;; [unrolled: 1-line block ×3, first 2 shown]
	v_cmpx_gt_u32_e64 s2, v12
	s_cbranch_execz .LBB17_721
; %bb.716:
	v_and_b32_e32 v5, 1, v4
	s_mov_b32 s5, exec_lo
	s_delay_alu instid0(VALU_DEP_1)
	v_cmpx_eq_u32_e32 1, v5
	s_cbranch_execz .LBB17_720
; %bb.717:
	s_waitcnt lgkmcnt(2)
	v_and_b32_e32 v5, 1, v11
	s_mov_b32 s6, exec_lo
	s_delay_alu instid0(VALU_DEP_1)
	v_cmpx_eq_u32_e32 1, v5
	s_cbranch_execz .LBB17_719
; %bb.718:
	s_waitcnt lgkmcnt(1)
	v_cmp_gt_f32_e32 vcc_lo, v1, v9
	v_dual_mov_b32 v4, 1 :: v_dual_cndmask_b32 v1, v1, v9
	s_waitcnt lgkmcnt(0)
	v_cmp_lt_f32_e32 vcc_lo, v2, v10
	v_cndmask_b32_e32 v2, v2, v10, vcc_lo
.LBB17_719:
	s_or_b32 exec_lo, exec_lo, s6
	s_waitcnt lgkmcnt(0)
	s_delay_alu instid0(VALU_DEP_1)
	v_dual_mov_b32 v11, v4 :: v_dual_mov_b32 v10, v2
	v_mov_b32_e32 v9, v1
.LBB17_720:
	s_or_b32 exec_lo, exec_lo, s5
	s_waitcnt lgkmcnt(0)
	s_delay_alu instid0(VALU_DEP_2) | instskip(NEXT) | instid1(VALU_DEP_2)
	v_dual_mov_b32 v8, v10 :: v_dual_and_b32 v5, 0xff, v11
	v_dual_mov_b32 v7, v9 :: v_dual_mov_b32 v4, v11
	v_dual_mov_b32 v2, v10 :: v_dual_mov_b32 v1, v9
.LBB17_721:
	s_or_b32 exec_lo, exec_lo, s4
	v_cmp_gt_u32_e32 vcc_lo, 4, v6
	v_add_nc_u32_e32 v6, 4, v6
	s_waitcnt lgkmcnt(1)
	v_cndmask_b32_e64 v9, 0, 1, vcc_lo
	s_delay_alu instid0(VALU_DEP_2) | instskip(NEXT) | instid1(VALU_DEP_2)
	v_cmp_gt_u32_e32 vcc_lo, s2, v6
	v_lshlrev_b32_e32 v9, 2, v9
	s_waitcnt lgkmcnt(0)
	s_delay_alu instid0(VALU_DEP_1)
	v_add_lshl_u32 v10, v9, v3, 2
	ds_bpermute_b32 v9, v10, v5
	ds_bpermute_b32 v3, v10, v7
	;; [unrolled: 1-line block ×3, first 2 shown]
	s_and_saveexec_b32 s2, vcc_lo
	s_cbranch_execz .LBB17_727
; %bb.722:
	v_and_b32_e32 v5, 1, v4
	s_mov_b32 s4, exec_lo
	s_delay_alu instid0(VALU_DEP_1)
	v_cmpx_eq_u32_e32 1, v5
	s_cbranch_execz .LBB17_726
; %bb.723:
	s_waitcnt lgkmcnt(2)
	v_and_b32_e32 v5, 1, v9
	s_mov_b32 s5, exec_lo
	s_delay_alu instid0(VALU_DEP_1)
	v_cmpx_eq_u32_e32 1, v5
	s_cbranch_execz .LBB17_725
; %bb.724:
	s_waitcnt lgkmcnt(1)
	v_cmp_gt_f32_e32 vcc_lo, v1, v3
	v_dual_mov_b32 v4, 1 :: v_dual_cndmask_b32 v1, v1, v3
	s_waitcnt lgkmcnt(0)
	v_cmp_lt_f32_e32 vcc_lo, v2, v7
	v_cndmask_b32_e32 v2, v2, v7, vcc_lo
.LBB17_725:
	s_or_b32 exec_lo, exec_lo, s5
	v_mov_b32_e32 v9, v4
	s_waitcnt lgkmcnt(1)
	v_mov_b32_e32 v3, v1
	s_waitcnt lgkmcnt(0)
	v_mov_b32_e32 v7, v2
.LBB17_726:
	s_or_b32 exec_lo, exec_lo, s4
	s_waitcnt lgkmcnt(0)
	s_delay_alu instid0(VALU_DEP_1)
	v_dual_mov_b32 v2, v7 :: v_dual_and_b32 v5, 0xff, v9
	v_mov_b32_e32 v1, v3
.LBB17_727:
	s_or_b32 exec_lo, exec_lo, s2
.LBB17_728:
	s_delay_alu instid0(SALU_CYCLE_1)
	s_or_b32 exec_lo, exec_lo, s3
.LBB17_729:
                                        ; implicit-def: $vgpr4
                                        ; implicit-def: $vgpr6
	s_delay_alu instid0(SALU_CYCLE_1)
	s_mov_b32 s2, exec_lo
	v_cmpx_eq_u32_e32 0, v0
	s_xor_b32 s4, exec_lo, s2
	s_cbranch_execz .LBB17_735
; %bb.730:
	s_waitcnt lgkmcnt(1)
	v_dual_mov_b32 v4, s23 :: v_dual_mov_b32 v3, s22
	v_mov_b32_e32 v6, s26
	s_cmp_eq_u64 s[18:19], 0
	s_cbranch_scc1 .LBB17_734
; %bb.731:
	s_bitcmp0_b32 s26, 0
	s_cbranch_scc1 .LBB17_733
; %bb.732:
	v_and_b32_e32 v3, 1, v5
	v_cmp_gt_f32_e32 vcc_lo, s22, v1
	s_waitcnt lgkmcnt(0)
	v_cmp_lt_f32_e64 s3, s23, v2
	s_delay_alu instid0(VALU_DEP_3) | instskip(NEXT) | instid1(VALU_DEP_1)
	v_cmp_eq_u32_e64 s2, 1, v3
	s_and_b32 vcc_lo, s2, vcc_lo
	v_cndmask_b32_e64 v5, s26, 1, s2
	v_cndmask_b32_e32 v1, s22, v1, vcc_lo
	s_and_b32 vcc_lo, s2, s3
	v_cndmask_b32_e32 v2, s23, v2, vcc_lo
.LBB17_733:
	s_waitcnt lgkmcnt(0)
	s_delay_alu instid0(VALU_DEP_1)
	v_dual_mov_b32 v4, v2 :: v_dual_mov_b32 v3, v1
	v_mov_b32_e32 v6, v5
.LBB17_734:
	s_or_b32 s10, s10, exec_lo
.LBB17_735:
	s_or_b32 exec_lo, exec_lo, s4
	s_branch .LBB17_776
.LBB17_736:
	s_cmp_eq_u32 s27, 1
	s_cbranch_scc0 .LBB17_775
; %bb.737:
	s_mov_b32 s21, 0
	s_lshr_b64 s[4:5], s[18:19], 8
	s_lshl_b32 s2, s20, 8
	s_cmp_lg_u64 s[4:5], s[20:21]
	s_cbranch_scc0 .LBB17_779
; %bb.738:
	s_mul_i32 s3, s2, 12
	s_mul_hi_u32 s5, s2, 12
	s_add_u32 s4, s16, s3
	s_addc_u32 s5, s17, s5
	s_mov_b32 s3, exec_lo
	s_waitcnt lgkmcnt(0)
	v_mad_u64_u32 v[1:2], null, v0, 12, s[4:5]
	s_clause 0x1
	global_load_u8 v3, v[1:2], off
	global_load_b64 v[1:2], v[1:2], off offset:4
	s_waitcnt vmcnt(1)
	v_and_b32_e32 v7, 1, v3
	s_waitcnt vmcnt(0)
	v_mov_b32_dpp v5, v1 quad_perm:[1,0,3,2] row_mask:0xf bank_mask:0xf
	v_mov_b32_dpp v4, v2 quad_perm:[1,0,3,2] row_mask:0xf bank_mask:0xf
	s_delay_alu instid0(VALU_DEP_3) | instskip(NEXT) | instid1(VALU_DEP_1)
	v_mov_b32_dpp v6, v7 quad_perm:[1,0,3,2] row_mask:0xf bank_mask:0xf
	v_and_b32_e32 v8, 1, v6
	s_delay_alu instid0(VALU_DEP_1)
	v_cmpx_eq_u32_e32 1, v8
	s_cbranch_execz .LBB17_742
; %bb.739:
	s_mov_b32 s4, exec_lo
	v_cmpx_eq_u32_e32 1, v7
; %bb.740:
	v_cmp_gt_f32_e32 vcc_lo, v2, v4
	v_mov_b32_e32 v6, 1
	v_cndmask_b32_e32 v4, v4, v2, vcc_lo
	v_cmp_lt_f32_e32 vcc_lo, v1, v5
	v_cndmask_b32_e32 v5, v5, v1, vcc_lo
; %bb.741:
	s_or_b32 exec_lo, exec_lo, s4
	s_delay_alu instid0(VALU_DEP_3) | instskip(NEXT) | instid1(VALU_DEP_2)
	v_dual_mov_b32 v3, v6 :: v_dual_mov_b32 v2, v4
	v_mov_b32_e32 v1, v5
.LBB17_742:
	s_or_b32 exec_lo, exec_lo, s3
	s_delay_alu instid0(VALU_DEP_2) | instskip(NEXT) | instid1(VALU_DEP_2)
	v_and_b32_e32 v4, 0xff, v3
	v_mov_b32_dpp v5, v1 quad_perm:[2,3,0,1] row_mask:0xf bank_mask:0xf
	s_mov_b32 s3, exec_lo
	s_delay_alu instid0(VALU_DEP_2) | instskip(SKIP_1) | instid1(VALU_DEP_2)
	v_mov_b32_dpp v6, v4 quad_perm:[2,3,0,1] row_mask:0xf bank_mask:0xf
	v_mov_b32_dpp v4, v2 quad_perm:[2,3,0,1] row_mask:0xf bank_mask:0xf
	v_and_b32_e32 v7, 1, v6
	s_delay_alu instid0(VALU_DEP_1)
	v_cmpx_eq_u32_e32 1, v7
	s_cbranch_execz .LBB17_746
; %bb.743:
	v_and_b32_e32 v3, 1, v3
	s_mov_b32 s4, exec_lo
	s_delay_alu instid0(VALU_DEP_1)
	v_cmpx_eq_u32_e32 1, v3
; %bb.744:
	v_cmp_gt_f32_e32 vcc_lo, v2, v4
	v_mov_b32_e32 v6, 1
	v_cndmask_b32_e32 v4, v4, v2, vcc_lo
	v_cmp_lt_f32_e32 vcc_lo, v1, v5
	v_cndmask_b32_e32 v5, v5, v1, vcc_lo
; %bb.745:
	s_or_b32 exec_lo, exec_lo, s4
	s_delay_alu instid0(VALU_DEP_3) | instskip(NEXT) | instid1(VALU_DEP_2)
	v_dual_mov_b32 v3, v6 :: v_dual_mov_b32 v2, v4
	v_mov_b32_e32 v1, v5
.LBB17_746:
	s_or_b32 exec_lo, exec_lo, s3
	s_delay_alu instid0(VALU_DEP_2) | instskip(NEXT) | instid1(VALU_DEP_2)
	v_and_b32_e32 v4, 0xff, v3
	v_mov_b32_dpp v5, v1 row_ror:4 row_mask:0xf bank_mask:0xf
	s_mov_b32 s3, exec_lo
	s_delay_alu instid0(VALU_DEP_2) | instskip(SKIP_1) | instid1(VALU_DEP_2)
	v_mov_b32_dpp v6, v4 row_ror:4 row_mask:0xf bank_mask:0xf
	v_mov_b32_dpp v4, v2 row_ror:4 row_mask:0xf bank_mask:0xf
	v_and_b32_e32 v7, 1, v6
	s_delay_alu instid0(VALU_DEP_1)
	v_cmpx_eq_u32_e32 1, v7
	s_cbranch_execz .LBB17_750
; %bb.747:
	v_and_b32_e32 v3, 1, v3
	s_mov_b32 s4, exec_lo
	s_delay_alu instid0(VALU_DEP_1)
	v_cmpx_eq_u32_e32 1, v3
; %bb.748:
	v_cmp_gt_f32_e32 vcc_lo, v2, v4
	v_mov_b32_e32 v6, 1
	v_cndmask_b32_e32 v4, v4, v2, vcc_lo
	v_cmp_lt_f32_e32 vcc_lo, v1, v5
	v_cndmask_b32_e32 v5, v5, v1, vcc_lo
; %bb.749:
	s_or_b32 exec_lo, exec_lo, s4
	s_delay_alu instid0(VALU_DEP_3) | instskip(NEXT) | instid1(VALU_DEP_2)
	v_dual_mov_b32 v3, v6 :: v_dual_mov_b32 v2, v4
	v_mov_b32_e32 v1, v5
.LBB17_750:
	s_or_b32 exec_lo, exec_lo, s3
	s_delay_alu instid0(VALU_DEP_2) | instskip(NEXT) | instid1(VALU_DEP_2)
	v_and_b32_e32 v4, 0xff, v3
	v_mov_b32_dpp v5, v1 row_ror:8 row_mask:0xf bank_mask:0xf
	s_mov_b32 s3, exec_lo
	s_delay_alu instid0(VALU_DEP_2) | instskip(SKIP_1) | instid1(VALU_DEP_2)
	v_mov_b32_dpp v6, v4 row_ror:8 row_mask:0xf bank_mask:0xf
	v_mov_b32_dpp v4, v2 row_ror:8 row_mask:0xf bank_mask:0xf
	v_and_b32_e32 v7, 1, v6
	s_delay_alu instid0(VALU_DEP_1)
	v_cmpx_eq_u32_e32 1, v7
	s_cbranch_execz .LBB17_754
; %bb.751:
	v_and_b32_e32 v3, 1, v3
	s_mov_b32 s4, exec_lo
	s_delay_alu instid0(VALU_DEP_1)
	v_cmpx_eq_u32_e32 1, v3
; %bb.752:
	v_cmp_gt_f32_e32 vcc_lo, v2, v4
	v_mov_b32_e32 v6, 1
	v_cndmask_b32_e32 v4, v4, v2, vcc_lo
	v_cmp_lt_f32_e32 vcc_lo, v1, v5
	v_cndmask_b32_e32 v5, v5, v1, vcc_lo
; %bb.753:
	s_or_b32 exec_lo, exec_lo, s4
	s_delay_alu instid0(VALU_DEP_3) | instskip(NEXT) | instid1(VALU_DEP_2)
	v_dual_mov_b32 v3, v6 :: v_dual_mov_b32 v2, v4
	v_mov_b32_e32 v1, v5
.LBB17_754:
	s_or_b32 exec_lo, exec_lo, s3
	s_delay_alu instid0(VALU_DEP_2)
	v_and_b32_e32 v4, 0xff, v3
	ds_swizzle_b32 v5, v1 offset:swizzle(BROADCAST,32,15)
	s_mov_b32 s3, exec_lo
	ds_swizzle_b32 v6, v4 offset:swizzle(BROADCAST,32,15)
	ds_swizzle_b32 v4, v2 offset:swizzle(BROADCAST,32,15)
	s_waitcnt lgkmcnt(1)
	v_and_b32_e32 v7, 1, v6
	s_delay_alu instid0(VALU_DEP_1)
	v_cmpx_eq_u32_e32 1, v7
	s_cbranch_execz .LBB17_758
; %bb.755:
	v_and_b32_e32 v3, 1, v3
	s_mov_b32 s4, exec_lo
	s_delay_alu instid0(VALU_DEP_1)
	v_cmpx_eq_u32_e32 1, v3
	s_cbranch_execz .LBB17_757
; %bb.756:
	s_waitcnt lgkmcnt(0)
	v_cmp_gt_f32_e32 vcc_lo, v2, v4
	v_mov_b32_e32 v6, 1
	v_cndmask_b32_e32 v4, v4, v2, vcc_lo
	v_cmp_lt_f32_e32 vcc_lo, v1, v5
	v_cndmask_b32_e32 v5, v5, v1, vcc_lo
.LBB17_757:
	s_or_b32 exec_lo, exec_lo, s4
	s_waitcnt lgkmcnt(0)
	v_dual_mov_b32 v3, v6 :: v_dual_mov_b32 v2, v4
	s_delay_alu instid0(VALU_DEP_2)
	v_mov_b32_e32 v1, v5
.LBB17_758:
	s_or_b32 exec_lo, exec_lo, s3
	s_waitcnt lgkmcnt(0)
	s_delay_alu instid0(VALU_DEP_2)
	v_dual_mov_b32 v4, 0 :: v_dual_and_b32 v3, 0xff, v3
	s_mov_b32 s3, exec_lo
	ds_bpermute_b32 v5, v4, v3 offset:124
	ds_bpermute_b32 v1, v4, v1 offset:124
	;; [unrolled: 1-line block ×3, first 2 shown]
	v_mbcnt_lo_u32_b32 v3, -1, 0
	s_delay_alu instid0(VALU_DEP_1)
	v_cmpx_eq_u32_e32 0, v3
	s_cbranch_execz .LBB17_760
; %bb.759:
	v_lshrrev_b32_e32 v4, 5, v0
	s_delay_alu instid0(VALU_DEP_1)
	v_mul_u32_u24_e32 v4, 12, v4
	s_waitcnt lgkmcnt(2)
	ds_store_b8 v4, v5 offset:192
	s_waitcnt lgkmcnt(1)
	ds_store_2addr_b32 v4, v1, v2 offset0:49 offset1:50
.LBB17_760:
	s_or_b32 exec_lo, exec_lo, s3
	s_delay_alu instid0(SALU_CYCLE_1)
	s_mov_b32 s3, exec_lo
	s_waitcnt lgkmcnt(0)
	s_barrier
	buffer_gl0_inv
	v_cmpx_gt_u32_e32 32, v0
	s_cbranch_execz .LBB17_774
; %bb.761:
	v_and_b32_e32 v4, 7, v3
	s_mov_b32 s4, exec_lo
	s_delay_alu instid0(VALU_DEP_1) | instskip(SKIP_4) | instid1(VALU_DEP_1)
	v_mul_u32_u24_e32 v1, 12, v4
	v_cmp_ne_u32_e32 vcc_lo, 7, v4
	ds_load_u8 v7, v1 offset:192
	ds_load_2addr_b32 v[1:2], v1 offset0:49 offset1:50
	v_add_co_ci_u32_e32 v5, vcc_lo, 0, v3, vcc_lo
	v_lshlrev_b32_e32 v5, 2, v5
	s_waitcnt lgkmcnt(1)
	v_and_b32_e32 v8, 0xff, v7
	s_waitcnt lgkmcnt(0)
	ds_bpermute_b32 v6, v5, v1
	ds_bpermute_b32 v10, v5, v8
	;; [unrolled: 1-line block ×3, first 2 shown]
	v_and_b32_e32 v8, 1, v7
	s_delay_alu instid0(VALU_DEP_1)
	v_cmpx_eq_u32_e32 1, v8
	s_cbranch_execz .LBB17_765
; %bb.762:
	s_waitcnt lgkmcnt(1)
	v_and_b32_e32 v8, 1, v10
	s_mov_b32 s5, exec_lo
	s_delay_alu instid0(VALU_DEP_1)
	v_cmpx_eq_u32_e32 1, v8
	s_cbranch_execz .LBB17_764
; %bb.763:
	v_cmp_gt_f32_e32 vcc_lo, v1, v6
	v_mov_b32_e32 v7, 1
	v_cndmask_b32_e32 v1, v1, v6, vcc_lo
	s_waitcnt lgkmcnt(0)
	v_cmp_lt_f32_e32 vcc_lo, v2, v5
	v_cndmask_b32_e32 v2, v2, v5, vcc_lo
.LBB17_764:
	s_or_b32 exec_lo, exec_lo, s5
	s_waitcnt lgkmcnt(0)
	s_delay_alu instid0(VALU_DEP_1)
	v_dual_mov_b32 v10, v7 :: v_dual_mov_b32 v5, v2
	v_mov_b32_e32 v6, v1
.LBB17_765:
	s_or_b32 exec_lo, exec_lo, s4
	v_cmp_gt_u32_e32 vcc_lo, 6, v4
	s_waitcnt lgkmcnt(1)
	v_and_b32_e32 v2, 0xff, v10
	s_mov_b32 s4, exec_lo
	v_cndmask_b32_e64 v1, 0, 1, vcc_lo
	s_delay_alu instid0(VALU_DEP_1) | instskip(NEXT) | instid1(VALU_DEP_1)
	v_lshlrev_b32_e32 v1, 1, v1
	v_add_lshl_u32 v1, v1, v3, 2
	ds_bpermute_b32 v9, v1, v2
	ds_bpermute_b32 v8, v1, v6
	s_waitcnt lgkmcnt(2)
	ds_bpermute_b32 v7, v1, v5
	v_and_b32_e32 v1, 1, v10
	s_delay_alu instid0(VALU_DEP_1)
	v_cmpx_eq_u32_e32 1, v1
	s_cbranch_execz .LBB17_769
; %bb.766:
	s_waitcnt lgkmcnt(2)
	v_and_b32_e32 v1, 1, v9
	s_mov_b32 s5, exec_lo
	s_delay_alu instid0(VALU_DEP_1)
	v_cmpx_eq_u32_e32 1, v1
	s_cbranch_execz .LBB17_768
; %bb.767:
	s_waitcnt lgkmcnt(1)
	v_cmp_gt_f32_e32 vcc_lo, v6, v8
	v_mov_b32_e32 v10, 1
	v_cndmask_b32_e32 v6, v6, v8, vcc_lo
	s_waitcnt lgkmcnt(0)
	v_cmp_lt_f32_e32 vcc_lo, v5, v7
	v_cndmask_b32_e32 v5, v5, v7, vcc_lo
.LBB17_768:
	s_or_b32 exec_lo, exec_lo, s5
	v_mov_b32_e32 v9, v10
	s_waitcnt lgkmcnt(0)
	s_delay_alu instid0(VALU_DEP_2)
	v_dual_mov_b32 v8, v6 :: v_dual_mov_b32 v7, v5
.LBB17_769:
	s_or_b32 exec_lo, exec_lo, s4
	v_cmp_gt_u32_e32 vcc_lo, 4, v4
	s_waitcnt lgkmcnt(2)
	v_and_b32_e32 v2, 0xff, v9
	s_mov_b32 s4, exec_lo
	v_cndmask_b32_e64 v1, 0, 1, vcc_lo
	s_delay_alu instid0(VALU_DEP_1) | instskip(NEXT) | instid1(VALU_DEP_1)
	v_lshlrev_b32_e32 v1, 2, v1
	v_add_lshl_u32 v4, v1, v3, 2
	ds_bpermute_b32 v3, v4, v2
	s_waitcnt lgkmcnt(2)
	ds_bpermute_b32 v1, v4, v8
	s_waitcnt lgkmcnt(2)
	ds_bpermute_b32 v2, v4, v7
	v_and_b32_e32 v4, 1, v9
	s_delay_alu instid0(VALU_DEP_1)
	v_cmpx_eq_u32_e32 1, v4
	s_cbranch_execz .LBB17_773
; %bb.770:
	s_waitcnt lgkmcnt(2)
	v_and_b32_e32 v3, 1, v3
	s_mov_b32 s5, exec_lo
	s_delay_alu instid0(VALU_DEP_1)
	v_cmpx_eq_u32_e32 1, v3
	s_cbranch_execz .LBB17_772
; %bb.771:
	s_waitcnt lgkmcnt(1)
	v_cmp_gt_f32_e32 vcc_lo, v8, v1
	v_dual_mov_b32 v9, 1 :: v_dual_cndmask_b32 v8, v8, v1
	s_waitcnt lgkmcnt(0)
	v_cmp_lt_f32_e32 vcc_lo, v7, v2
	v_cndmask_b32_e32 v7, v7, v2, vcc_lo
.LBB17_772:
	s_or_b32 exec_lo, exec_lo, s5
	s_waitcnt lgkmcnt(0)
	s_delay_alu instid0(VALU_DEP_1)
	v_dual_mov_b32 v3, v9 :: v_dual_mov_b32 v2, v7
	v_mov_b32_e32 v1, v8
.LBB17_773:
	s_or_b32 exec_lo, exec_lo, s4
	s_waitcnt lgkmcnt(2)
	s_delay_alu instid0(VALU_DEP_2)
	v_and_b32_e32 v5, 0xff, v3
.LBB17_774:
	s_or_b32 exec_lo, exec_lo, s3
	s_branch .LBB17_835
.LBB17_775:
                                        ; implicit-def: $vgpr4
                                        ; implicit-def: $vgpr6
                                        ; implicit-def: $sgpr20_sgpr21
.LBB17_776:
	s_and_saveexec_b32 s2, s10
	s_cbranch_execz .LBB17_778
.LBB17_777:
	s_load_b64 s[0:1], s[0:1], 0x18
	s_mul_i32 s2, s21, 12
	s_mul_hi_u32 s3, s20, 12
	s_mul_i32 s4, s20, 12
	v_mov_b32_e32 v0, 0
	s_add_i32 s3, s3, s2
	s_waitcnt lgkmcnt(0)
	s_add_u32 s0, s0, s4
	s_addc_u32 s1, s1, s3
	s_clause 0x1
	global_store_b8 v0, v6, s[0:1]
	global_store_b64 v0, v[3:4], s[0:1] offset:4
.LBB17_778:
	s_nop 0
	s_sendmsg sendmsg(MSG_DEALLOC_VGPRS)
	s_endpgm
.LBB17_779:
                                        ; implicit-def: $vgpr2
                                        ; implicit-def: $vgpr5
	s_cbranch_execz .LBB17_835
; %bb.780:
	s_waitcnt lgkmcnt(1)
	v_dual_mov_b32 v1, 0 :: v_dual_mov_b32 v4, 0
	s_waitcnt lgkmcnt(0)
	v_mov_b32_e32 v2, 0
	s_sub_i32 s3, s18, s2
	s_mov_b32 s4, exec_lo
	v_cmpx_gt_u32_e64 s3, v0
; %bb.781:
	s_mul_i32 s5, s2, 12
	s_mul_hi_u32 s2, s2, 12
	s_add_u32 s6, s16, s5
	s_addc_u32 s7, s17, s2
	s_delay_alu instid0(SALU_CYCLE_1)
	v_mad_u64_u32 v[1:2], null, v0, 12, s[6:7]
	s_clause 0x1
	global_load_u8 v4, v[1:2], off
	global_load_b64 v[1:2], v[1:2], off offset:4
; %bb.782:
	s_or_b32 exec_lo, exec_lo, s4
	v_mbcnt_lo_u32_b32 v3, -1, 0
	s_waitcnt vmcnt(1)
	v_and_b32_e32 v5, 0xff, v4
	s_min_u32 s2, s3, 0x100
	s_mov_b32 s3, exec_lo
	v_cmp_ne_u32_e32 vcc_lo, 31, v3
	v_add_nc_u32_e32 v10, 1, v3
	v_add_co_ci_u32_e32 v6, vcc_lo, 0, v3, vcc_lo
	s_delay_alu instid0(VALU_DEP_1)
	v_lshlrev_b32_e32 v6, 2, v6
	ds_bpermute_b32 v9, v6, v5
	s_waitcnt vmcnt(0)
	ds_bpermute_b32 v7, v6, v1
	ds_bpermute_b32 v8, v6, v2
	v_and_b32_e32 v6, 0xe0, v0
	s_delay_alu instid0(VALU_DEP_1) | instskip(NEXT) | instid1(VALU_DEP_1)
	v_sub_nc_u32_e64 v6, s2, v6 clamp
	v_cmpx_lt_u32_e64 v10, v6
	s_cbranch_execz .LBB17_788
; %bb.783:
	v_and_b32_e32 v5, 1, v4
	s_mov_b32 s4, exec_lo
	s_delay_alu instid0(VALU_DEP_1)
	v_cmpx_eq_u32_e32 1, v5
	s_cbranch_execz .LBB17_787
; %bb.784:
	s_waitcnt lgkmcnt(2)
	v_and_b32_e32 v5, 1, v9
	s_mov_b32 s5, exec_lo
	s_delay_alu instid0(VALU_DEP_1)
	v_cmpx_eq_u32_e32 1, v5
	s_cbranch_execz .LBB17_786
; %bb.785:
	s_waitcnt lgkmcnt(1)
	v_cmp_gt_f32_e32 vcc_lo, v1, v7
	v_dual_mov_b32 v4, 1 :: v_dual_cndmask_b32 v1, v1, v7
	s_waitcnt lgkmcnt(0)
	v_cmp_lt_f32_e32 vcc_lo, v2, v8
	v_cndmask_b32_e32 v2, v2, v8, vcc_lo
.LBB17_786:
	s_or_b32 exec_lo, exec_lo, s5
	s_waitcnt lgkmcnt(0)
	s_delay_alu instid0(VALU_DEP_1)
	v_dual_mov_b32 v9, v4 :: v_dual_mov_b32 v8, v2
	v_mov_b32_e32 v7, v1
.LBB17_787:
	s_or_b32 exec_lo, exec_lo, s4
	s_waitcnt lgkmcnt(0)
	s_delay_alu instid0(VALU_DEP_2) | instskip(NEXT) | instid1(VALU_DEP_2)
	v_dual_mov_b32 v2, v8 :: v_dual_and_b32 v5, 0xff, v9
	v_dual_mov_b32 v1, v7 :: v_dual_mov_b32 v4, v9
.LBB17_788:
	s_or_b32 exec_lo, exec_lo, s3
	v_cmp_gt_u32_e32 vcc_lo, 30, v3
	v_add_nc_u32_e32 v10, 2, v3
	s_mov_b32 s3, exec_lo
	s_waitcnt lgkmcnt(1)
	v_cndmask_b32_e64 v7, 0, 1, vcc_lo
	s_delay_alu instid0(VALU_DEP_1) | instskip(NEXT) | instid1(VALU_DEP_1)
	v_lshlrev_b32_e32 v7, 1, v7
	v_add_lshl_u32 v7, v7, v3, 2
	ds_bpermute_b32 v9, v7, v5
	s_waitcnt lgkmcnt(1)
	ds_bpermute_b32 v8, v7, v1
	ds_bpermute_b32 v7, v7, v2
	v_cmpx_lt_u32_e64 v10, v6
	s_cbranch_execz .LBB17_794
; %bb.789:
	v_and_b32_e32 v5, 1, v4
	s_mov_b32 s4, exec_lo
	s_delay_alu instid0(VALU_DEP_1)
	v_cmpx_eq_u32_e32 1, v5
	s_cbranch_execz .LBB17_793
; %bb.790:
	s_waitcnt lgkmcnt(2)
	v_and_b32_e32 v5, 1, v9
	s_mov_b32 s5, exec_lo
	s_delay_alu instid0(VALU_DEP_1)
	v_cmpx_eq_u32_e32 1, v5
	s_cbranch_execz .LBB17_792
; %bb.791:
	s_waitcnt lgkmcnt(1)
	v_cmp_gt_f32_e32 vcc_lo, v1, v8
	v_dual_mov_b32 v4, 1 :: v_dual_cndmask_b32 v1, v1, v8
	s_waitcnt lgkmcnt(0)
	v_cmp_lt_f32_e32 vcc_lo, v2, v7
	v_cndmask_b32_e32 v2, v2, v7, vcc_lo
.LBB17_792:
	s_or_b32 exec_lo, exec_lo, s5
	s_waitcnt lgkmcnt(1)
	v_dual_mov_b32 v9, v4 :: v_dual_mov_b32 v8, v1
	s_waitcnt lgkmcnt(0)
	v_mov_b32_e32 v7, v2
.LBB17_793:
	s_or_b32 exec_lo, exec_lo, s4
	s_waitcnt lgkmcnt(0)
	s_delay_alu instid0(VALU_DEP_1)
	v_dual_mov_b32 v2, v7 :: v_dual_and_b32 v5, 0xff, v9
	v_dual_mov_b32 v1, v8 :: v_dual_mov_b32 v4, v9
.LBB17_794:
	s_or_b32 exec_lo, exec_lo, s3
	v_cmp_gt_u32_e32 vcc_lo, 28, v3
	v_add_nc_u32_e32 v10, 4, v3
	s_mov_b32 s3, exec_lo
	s_waitcnt lgkmcnt(0)
	v_cndmask_b32_e64 v7, 0, 1, vcc_lo
	s_delay_alu instid0(VALU_DEP_1) | instskip(NEXT) | instid1(VALU_DEP_1)
	v_lshlrev_b32_e32 v7, 2, v7
	v_add_lshl_u32 v7, v7, v3, 2
	ds_bpermute_b32 v9, v7, v5
	ds_bpermute_b32 v8, v7, v1
	ds_bpermute_b32 v7, v7, v2
	v_cmpx_lt_u32_e64 v10, v6
	s_cbranch_execz .LBB17_800
; %bb.795:
	v_and_b32_e32 v5, 1, v4
	s_mov_b32 s4, exec_lo
	s_delay_alu instid0(VALU_DEP_1)
	v_cmpx_eq_u32_e32 1, v5
	s_cbranch_execz .LBB17_799
; %bb.796:
	s_waitcnt lgkmcnt(2)
	v_and_b32_e32 v5, 1, v9
	s_mov_b32 s5, exec_lo
	s_delay_alu instid0(VALU_DEP_1)
	v_cmpx_eq_u32_e32 1, v5
	s_cbranch_execz .LBB17_798
; %bb.797:
	s_waitcnt lgkmcnt(1)
	v_cmp_gt_f32_e32 vcc_lo, v1, v8
	v_dual_mov_b32 v4, 1 :: v_dual_cndmask_b32 v1, v1, v8
	s_waitcnt lgkmcnt(0)
	v_cmp_lt_f32_e32 vcc_lo, v2, v7
	v_cndmask_b32_e32 v2, v2, v7, vcc_lo
.LBB17_798:
	s_or_b32 exec_lo, exec_lo, s5
	s_waitcnt lgkmcnt(1)
	v_dual_mov_b32 v9, v4 :: v_dual_mov_b32 v8, v1
	s_waitcnt lgkmcnt(0)
	v_mov_b32_e32 v7, v2
.LBB17_799:
	s_or_b32 exec_lo, exec_lo, s4
	s_waitcnt lgkmcnt(0)
	s_delay_alu instid0(VALU_DEP_1)
	v_dual_mov_b32 v2, v7 :: v_dual_and_b32 v5, 0xff, v9
	v_dual_mov_b32 v1, v8 :: v_dual_mov_b32 v4, v9
.LBB17_800:
	s_or_b32 exec_lo, exec_lo, s3
	v_cmp_gt_u32_e32 vcc_lo, 24, v3
	v_add_nc_u32_e32 v10, 8, v3
	s_mov_b32 s3, exec_lo
	s_waitcnt lgkmcnt(0)
	v_cndmask_b32_e64 v7, 0, 1, vcc_lo
	s_delay_alu instid0(VALU_DEP_1) | instskip(NEXT) | instid1(VALU_DEP_1)
	v_lshlrev_b32_e32 v7, 3, v7
	v_add_lshl_u32 v7, v7, v3, 2
	ds_bpermute_b32 v9, v7, v5
	;; [unrolled: 47-line block ×3, first 2 shown]
	ds_bpermute_b32 v7, v8, v1
	ds_bpermute_b32 v8, v8, v2
	v_cmpx_lt_u32_e64 v10, v6
	s_cbranch_execz .LBB17_812
; %bb.807:
	v_and_b32_e32 v5, 1, v4
	s_mov_b32 s4, exec_lo
	s_delay_alu instid0(VALU_DEP_1)
	v_cmpx_eq_u32_e32 1, v5
	s_cbranch_execz .LBB17_811
; %bb.808:
	s_waitcnt lgkmcnt(2)
	v_and_b32_e32 v5, 1, v9
	s_mov_b32 s5, exec_lo
	s_delay_alu instid0(VALU_DEP_1)
	v_cmpx_eq_u32_e32 1, v5
	s_cbranch_execz .LBB17_810
; %bb.809:
	s_waitcnt lgkmcnt(1)
	v_cmp_gt_f32_e32 vcc_lo, v1, v7
	v_dual_mov_b32 v4, 1 :: v_dual_cndmask_b32 v1, v1, v7
	s_waitcnt lgkmcnt(0)
	v_cmp_lt_f32_e32 vcc_lo, v2, v8
	v_cndmask_b32_e32 v2, v2, v8, vcc_lo
.LBB17_810:
	s_or_b32 exec_lo, exec_lo, s5
	s_waitcnt lgkmcnt(0)
	s_delay_alu instid0(VALU_DEP_1)
	v_dual_mov_b32 v9, v4 :: v_dual_mov_b32 v8, v2
	v_mov_b32_e32 v7, v1
.LBB17_811:
	s_or_b32 exec_lo, exec_lo, s4
	s_waitcnt lgkmcnt(2)
	s_delay_alu instid0(VALU_DEP_2)
	v_dual_mov_b32 v4, v9 :: v_dual_and_b32 v5, 0xff, v9
	s_waitcnt lgkmcnt(0)
	v_dual_mov_b32 v2, v8 :: v_dual_mov_b32 v1, v7
.LBB17_812:
	s_or_b32 exec_lo, exec_lo, s3
	s_delay_alu instid0(SALU_CYCLE_1)
	s_mov_b32 s3, exec_lo
	v_cmpx_eq_u32_e32 0, v3
	s_cbranch_execz .LBB17_814
; %bb.813:
	v_lshrrev_b32_e32 v6, 5, v0
	s_delay_alu instid0(VALU_DEP_1)
	v_mul_u32_u24_e32 v6, 12, v6
	ds_store_b8 v6, v4
	ds_store_2addr_b32 v6, v1, v2 offset0:1 offset1:2
.LBB17_814:
	s_or_b32 exec_lo, exec_lo, s3
	s_delay_alu instid0(SALU_CYCLE_1)
	s_mov_b32 s3, exec_lo
	s_waitcnt lgkmcnt(0)
	s_barrier
	buffer_gl0_inv
	v_cmpx_gt_u32_e32 8, v0
	s_cbranch_execz .LBB17_834
; %bb.815:
	v_mul_u32_u24_e32 v1, 12, v3
	s_add_i32 s2, s2, 31
	ds_load_u8 v4, v1
	ds_load_2addr_b32 v[1:2], v1 offset0:1 offset1:2
	v_and_b32_e32 v6, 7, v3
	s_lshr_b32 s2, s2, 5
	s_delay_alu instid0(VALU_DEP_1) | instskip(SKIP_1) | instid1(VALU_DEP_1)
	v_cmp_ne_u32_e32 vcc_lo, 7, v6
	v_add_co_ci_u32_e32 v5, vcc_lo, 0, v3, vcc_lo
	v_lshlrev_b32_e32 v7, 2, v5
	s_waitcnt lgkmcnt(0)
	v_dual_mov_b32 v8, v2 :: v_dual_and_b32 v5, 0xff, v4
	ds_bpermute_b32 v9, v7, v1
	ds_bpermute_b32 v10, v7, v2
	;; [unrolled: 1-line block ×3, first 2 shown]
	v_add_nc_u32_e32 v7, 1, v6
	s_delay_alu instid0(VALU_DEP_1)
	v_cmp_gt_u32_e32 vcc_lo, s2, v7
	v_mov_b32_e32 v7, v1
	s_and_saveexec_b32 s4, vcc_lo
	s_cbranch_execz .LBB17_821
; %bb.816:
	v_and_b32_e32 v5, 1, v4
	s_mov_b32 s5, exec_lo
	s_delay_alu instid0(VALU_DEP_1)
	v_cmpx_eq_u32_e32 1, v5
	s_cbranch_execz .LBB17_820
; %bb.817:
	s_waitcnt lgkmcnt(0)
	v_and_b32_e32 v5, 1, v11
	s_mov_b32 s6, exec_lo
	s_delay_alu instid0(VALU_DEP_1)
	v_cmpx_eq_u32_e32 1, v5
; %bb.818:
	v_cmp_gt_f32_e32 vcc_lo, v1, v9
	v_dual_mov_b32 v4, 1 :: v_dual_cndmask_b32 v1, v1, v9
	v_cmp_lt_f32_e32 vcc_lo, v2, v10
	v_cndmask_b32_e32 v2, v2, v10, vcc_lo
; %bb.819:
	s_or_b32 exec_lo, exec_lo, s6
	s_delay_alu instid0(VALU_DEP_1)
	v_dual_mov_b32 v11, v4 :: v_dual_mov_b32 v10, v2
	v_mov_b32_e32 v9, v1
.LBB17_820:
	s_or_b32 exec_lo, exec_lo, s5
	s_waitcnt lgkmcnt(0)
	s_delay_alu instid0(VALU_DEP_2) | instskip(NEXT) | instid1(VALU_DEP_2)
	v_dual_mov_b32 v8, v10 :: v_dual_and_b32 v5, 0xff, v11
	v_dual_mov_b32 v7, v9 :: v_dual_mov_b32 v4, v11
	v_dual_mov_b32 v2, v10 :: v_dual_mov_b32 v1, v9
.LBB17_821:
	s_or_b32 exec_lo, exec_lo, s4
	v_cmp_gt_u32_e32 vcc_lo, 6, v6
	v_add_nc_u32_e32 v12, 2, v6
	s_mov_b32 s4, exec_lo
	s_waitcnt lgkmcnt(2)
	v_cndmask_b32_e64 v9, 0, 1, vcc_lo
	s_delay_alu instid0(VALU_DEP_1) | instskip(SKIP_1) | instid1(VALU_DEP_1)
	v_lshlrev_b32_e32 v9, 1, v9
	s_waitcnt lgkmcnt(1)
	v_add_lshl_u32 v10, v9, v3, 2
	s_waitcnt lgkmcnt(0)
	ds_bpermute_b32 v11, v10, v5
	ds_bpermute_b32 v9, v10, v7
	;; [unrolled: 1-line block ×3, first 2 shown]
	v_cmpx_gt_u32_e64 s2, v12
	s_cbranch_execz .LBB17_827
; %bb.822:
	v_and_b32_e32 v5, 1, v4
	s_mov_b32 s5, exec_lo
	s_delay_alu instid0(VALU_DEP_1)
	v_cmpx_eq_u32_e32 1, v5
	s_cbranch_execz .LBB17_826
; %bb.823:
	s_waitcnt lgkmcnt(2)
	v_and_b32_e32 v5, 1, v11
	s_mov_b32 s6, exec_lo
	s_delay_alu instid0(VALU_DEP_1)
	v_cmpx_eq_u32_e32 1, v5
	s_cbranch_execz .LBB17_825
; %bb.824:
	s_waitcnt lgkmcnt(1)
	v_cmp_gt_f32_e32 vcc_lo, v1, v9
	v_dual_mov_b32 v4, 1 :: v_dual_cndmask_b32 v1, v1, v9
	s_waitcnt lgkmcnt(0)
	v_cmp_lt_f32_e32 vcc_lo, v2, v10
	v_cndmask_b32_e32 v2, v2, v10, vcc_lo
.LBB17_825:
	s_or_b32 exec_lo, exec_lo, s6
	s_waitcnt lgkmcnt(0)
	s_delay_alu instid0(VALU_DEP_1)
	v_dual_mov_b32 v11, v4 :: v_dual_mov_b32 v10, v2
	v_mov_b32_e32 v9, v1
.LBB17_826:
	s_or_b32 exec_lo, exec_lo, s5
	s_waitcnt lgkmcnt(0)
	s_delay_alu instid0(VALU_DEP_2) | instskip(NEXT) | instid1(VALU_DEP_2)
	v_dual_mov_b32 v8, v10 :: v_dual_and_b32 v5, 0xff, v11
	v_dual_mov_b32 v7, v9 :: v_dual_mov_b32 v4, v11
	v_dual_mov_b32 v2, v10 :: v_dual_mov_b32 v1, v9
.LBB17_827:
	s_or_b32 exec_lo, exec_lo, s4
	v_cmp_gt_u32_e32 vcc_lo, 4, v6
	v_add_nc_u32_e32 v6, 4, v6
	s_waitcnt lgkmcnt(1)
	v_cndmask_b32_e64 v9, 0, 1, vcc_lo
	s_delay_alu instid0(VALU_DEP_2) | instskip(NEXT) | instid1(VALU_DEP_2)
	v_cmp_gt_u32_e32 vcc_lo, s2, v6
	v_lshlrev_b32_e32 v9, 2, v9
	s_waitcnt lgkmcnt(0)
	s_delay_alu instid0(VALU_DEP_1)
	v_add_lshl_u32 v10, v9, v3, 2
	ds_bpermute_b32 v9, v10, v5
	ds_bpermute_b32 v3, v10, v7
	ds_bpermute_b32 v7, v10, v8
	s_and_saveexec_b32 s2, vcc_lo
	s_cbranch_execz .LBB17_833
; %bb.828:
	v_and_b32_e32 v5, 1, v4
	s_mov_b32 s4, exec_lo
	s_delay_alu instid0(VALU_DEP_1)
	v_cmpx_eq_u32_e32 1, v5
	s_cbranch_execz .LBB17_832
; %bb.829:
	s_waitcnt lgkmcnt(2)
	v_and_b32_e32 v5, 1, v9
	s_mov_b32 s5, exec_lo
	s_delay_alu instid0(VALU_DEP_1)
	v_cmpx_eq_u32_e32 1, v5
	s_cbranch_execz .LBB17_831
; %bb.830:
	s_waitcnt lgkmcnt(1)
	v_cmp_gt_f32_e32 vcc_lo, v1, v3
	v_dual_mov_b32 v4, 1 :: v_dual_cndmask_b32 v1, v1, v3
	s_waitcnt lgkmcnt(0)
	v_cmp_lt_f32_e32 vcc_lo, v2, v7
	v_cndmask_b32_e32 v2, v2, v7, vcc_lo
.LBB17_831:
	s_or_b32 exec_lo, exec_lo, s5
	v_mov_b32_e32 v9, v4
	s_waitcnt lgkmcnt(1)
	v_mov_b32_e32 v3, v1
	s_waitcnt lgkmcnt(0)
	v_mov_b32_e32 v7, v2
.LBB17_832:
	s_or_b32 exec_lo, exec_lo, s4
	s_waitcnt lgkmcnt(0)
	s_delay_alu instid0(VALU_DEP_1)
	v_dual_mov_b32 v2, v7 :: v_dual_and_b32 v5, 0xff, v9
	v_mov_b32_e32 v1, v3
.LBB17_833:
	s_or_b32 exec_lo, exec_lo, s2
.LBB17_834:
	s_delay_alu instid0(SALU_CYCLE_1)
	s_or_b32 exec_lo, exec_lo, s3
.LBB17_835:
	s_delay_alu instid0(SALU_CYCLE_1)
	s_mov_b32 s4, exec_lo
                                        ; implicit-def: $vgpr4
                                        ; implicit-def: $vgpr6
	v_cmpx_eq_u32_e32 0, v0
	s_cbranch_execz .LBB17_841
; %bb.836:
	s_waitcnt lgkmcnt(1)
	v_dual_mov_b32 v4, s23 :: v_dual_mov_b32 v3, s22
	v_mov_b32_e32 v6, s26
	s_cmp_eq_u64 s[18:19], 0
	s_cbranch_scc1 .LBB17_840
; %bb.837:
	s_bitcmp0_b32 s26, 0
	s_cbranch_scc1 .LBB17_839
; %bb.838:
	v_and_b32_e32 v0, 1, v5
	v_cmp_gt_f32_e32 vcc_lo, s22, v1
	s_waitcnt lgkmcnt(0)
	v_cmp_lt_f32_e64 s3, s23, v2
	s_delay_alu instid0(VALU_DEP_3) | instskip(NEXT) | instid1(VALU_DEP_1)
	v_cmp_eq_u32_e64 s2, 1, v0
	s_and_b32 vcc_lo, s2, vcc_lo
	v_cndmask_b32_e64 v5, s26, 1, s2
	v_cndmask_b32_e32 v1, s22, v1, vcc_lo
	s_and_b32 vcc_lo, s2, s3
	v_cndmask_b32_e32 v2, s23, v2, vcc_lo
.LBB17_839:
	s_waitcnt lgkmcnt(0)
	s_delay_alu instid0(VALU_DEP_1)
	v_dual_mov_b32 v4, v2 :: v_dual_mov_b32 v3, v1
	v_mov_b32_e32 v6, v5
.LBB17_840:
	s_or_b32 s10, s10, exec_lo
.LBB17_841:
	s_or_b32 exec_lo, exec_lo, s4
	s_and_saveexec_b32 s2, s10
	s_cbranch_execnz .LBB17_777
	s_branch .LBB17_778
	.section	.rodata,"a",@progbits
	.p2align	6, 0x0
	.amdhsa_kernel _ZN7rocprim17ROCPRIM_400000_NS6detail17trampoline_kernelINS0_14default_configENS1_22reduce_config_selectorIN6thrust23THRUST_200600_302600_NS5tupleIbffNS6_9null_typeES8_S8_S8_S8_S8_S8_EEEEZNS1_11reduce_implILb1ES3_PS9_SC_S9_12reduce_tupleIifEEE10hipError_tPvRmT1_T2_T3_mT4_P12ihipStream_tbEUlT_E1_NS1_11comp_targetILNS1_3genE9ELNS1_11target_archE1100ELNS1_3gpuE3ELNS1_3repE0EEENS1_30default_config_static_selectorELNS0_4arch9wavefront6targetE0EEEvSI_
		.amdhsa_group_segment_fixed_size 576
		.amdhsa_private_segment_fixed_size 0
		.amdhsa_kernarg_size 48
		.amdhsa_user_sgpr_count 15
		.amdhsa_user_sgpr_dispatch_ptr 0
		.amdhsa_user_sgpr_queue_ptr 0
		.amdhsa_user_sgpr_kernarg_segment_ptr 1
		.amdhsa_user_sgpr_dispatch_id 0
		.amdhsa_user_sgpr_private_segment_size 0
		.amdhsa_wavefront_size32 1
		.amdhsa_uses_dynamic_stack 0
		.amdhsa_enable_private_segment 0
		.amdhsa_system_sgpr_workgroup_id_x 1
		.amdhsa_system_sgpr_workgroup_id_y 0
		.amdhsa_system_sgpr_workgroup_id_z 0
		.amdhsa_system_sgpr_workgroup_info 0
		.amdhsa_system_vgpr_workitem_id 0
		.amdhsa_next_free_vgpr 51
		.amdhsa_next_free_sgpr 31
		.amdhsa_reserve_vcc 1
		.amdhsa_float_round_mode_32 0
		.amdhsa_float_round_mode_16_64 0
		.amdhsa_float_denorm_mode_32 3
		.amdhsa_float_denorm_mode_16_64 3
		.amdhsa_dx10_clamp 1
		.amdhsa_ieee_mode 1
		.amdhsa_fp16_overflow 0
		.amdhsa_workgroup_processor_mode 1
		.amdhsa_memory_ordered 1
		.amdhsa_forward_progress 0
		.amdhsa_shared_vgpr_count 0
		.amdhsa_exception_fp_ieee_invalid_op 0
		.amdhsa_exception_fp_denorm_src 0
		.amdhsa_exception_fp_ieee_div_zero 0
		.amdhsa_exception_fp_ieee_overflow 0
		.amdhsa_exception_fp_ieee_underflow 0
		.amdhsa_exception_fp_ieee_inexact 0
		.amdhsa_exception_int_div_zero 0
	.end_amdhsa_kernel
	.section	.text._ZN7rocprim17ROCPRIM_400000_NS6detail17trampoline_kernelINS0_14default_configENS1_22reduce_config_selectorIN6thrust23THRUST_200600_302600_NS5tupleIbffNS6_9null_typeES8_S8_S8_S8_S8_S8_EEEEZNS1_11reduce_implILb1ES3_PS9_SC_S9_12reduce_tupleIifEEE10hipError_tPvRmT1_T2_T3_mT4_P12ihipStream_tbEUlT_E1_NS1_11comp_targetILNS1_3genE9ELNS1_11target_archE1100ELNS1_3gpuE3ELNS1_3repE0EEENS1_30default_config_static_selectorELNS0_4arch9wavefront6targetE0EEEvSI_,"axG",@progbits,_ZN7rocprim17ROCPRIM_400000_NS6detail17trampoline_kernelINS0_14default_configENS1_22reduce_config_selectorIN6thrust23THRUST_200600_302600_NS5tupleIbffNS6_9null_typeES8_S8_S8_S8_S8_S8_EEEEZNS1_11reduce_implILb1ES3_PS9_SC_S9_12reduce_tupleIifEEE10hipError_tPvRmT1_T2_T3_mT4_P12ihipStream_tbEUlT_E1_NS1_11comp_targetILNS1_3genE9ELNS1_11target_archE1100ELNS1_3gpuE3ELNS1_3repE0EEENS1_30default_config_static_selectorELNS0_4arch9wavefront6targetE0EEEvSI_,comdat
.Lfunc_end17:
	.size	_ZN7rocprim17ROCPRIM_400000_NS6detail17trampoline_kernelINS0_14default_configENS1_22reduce_config_selectorIN6thrust23THRUST_200600_302600_NS5tupleIbffNS6_9null_typeES8_S8_S8_S8_S8_S8_EEEEZNS1_11reduce_implILb1ES3_PS9_SC_S9_12reduce_tupleIifEEE10hipError_tPvRmT1_T2_T3_mT4_P12ihipStream_tbEUlT_E1_NS1_11comp_targetILNS1_3genE9ELNS1_11target_archE1100ELNS1_3gpuE3ELNS1_3repE0EEENS1_30default_config_static_selectorELNS0_4arch9wavefront6targetE0EEEvSI_, .Lfunc_end17-_ZN7rocprim17ROCPRIM_400000_NS6detail17trampoline_kernelINS0_14default_configENS1_22reduce_config_selectorIN6thrust23THRUST_200600_302600_NS5tupleIbffNS6_9null_typeES8_S8_S8_S8_S8_S8_EEEEZNS1_11reduce_implILb1ES3_PS9_SC_S9_12reduce_tupleIifEEE10hipError_tPvRmT1_T2_T3_mT4_P12ihipStream_tbEUlT_E1_NS1_11comp_targetILNS1_3genE9ELNS1_11target_archE1100ELNS1_3gpuE3ELNS1_3repE0EEENS1_30default_config_static_selectorELNS0_4arch9wavefront6targetE0EEEvSI_
                                        ; -- End function
	.section	.AMDGPU.csdata,"",@progbits
; Kernel info:
; codeLenInByte = 26232
; NumSgprs: 33
; NumVgprs: 51
; ScratchSize: 0
; MemoryBound: 0
; FloatMode: 240
; IeeeMode: 1
; LDSByteSize: 576 bytes/workgroup (compile time only)
; SGPRBlocks: 4
; VGPRBlocks: 6
; NumSGPRsForWavesPerEU: 33
; NumVGPRsForWavesPerEU: 51
; Occupancy: 16
; WaveLimiterHint : 1
; COMPUTE_PGM_RSRC2:SCRATCH_EN: 0
; COMPUTE_PGM_RSRC2:USER_SGPR: 15
; COMPUTE_PGM_RSRC2:TRAP_HANDLER: 0
; COMPUTE_PGM_RSRC2:TGID_X_EN: 1
; COMPUTE_PGM_RSRC2:TGID_Y_EN: 0
; COMPUTE_PGM_RSRC2:TGID_Z_EN: 0
; COMPUTE_PGM_RSRC2:TIDIG_COMP_CNT: 0
	.section	.text._ZN7rocprim17ROCPRIM_400000_NS6detail17trampoline_kernelINS0_14default_configENS1_22reduce_config_selectorIN6thrust23THRUST_200600_302600_NS5tupleIbffNS6_9null_typeES8_S8_S8_S8_S8_S8_EEEEZNS1_11reduce_implILb1ES3_PS9_SC_S9_12reduce_tupleIifEEE10hipError_tPvRmT1_T2_T3_mT4_P12ihipStream_tbEUlT_E1_NS1_11comp_targetILNS1_3genE8ELNS1_11target_archE1030ELNS1_3gpuE2ELNS1_3repE0EEENS1_30default_config_static_selectorELNS0_4arch9wavefront6targetE0EEEvSI_,"axG",@progbits,_ZN7rocprim17ROCPRIM_400000_NS6detail17trampoline_kernelINS0_14default_configENS1_22reduce_config_selectorIN6thrust23THRUST_200600_302600_NS5tupleIbffNS6_9null_typeES8_S8_S8_S8_S8_S8_EEEEZNS1_11reduce_implILb1ES3_PS9_SC_S9_12reduce_tupleIifEEE10hipError_tPvRmT1_T2_T3_mT4_P12ihipStream_tbEUlT_E1_NS1_11comp_targetILNS1_3genE8ELNS1_11target_archE1030ELNS1_3gpuE2ELNS1_3repE0EEENS1_30default_config_static_selectorELNS0_4arch9wavefront6targetE0EEEvSI_,comdat
	.protected	_ZN7rocprim17ROCPRIM_400000_NS6detail17trampoline_kernelINS0_14default_configENS1_22reduce_config_selectorIN6thrust23THRUST_200600_302600_NS5tupleIbffNS6_9null_typeES8_S8_S8_S8_S8_S8_EEEEZNS1_11reduce_implILb1ES3_PS9_SC_S9_12reduce_tupleIifEEE10hipError_tPvRmT1_T2_T3_mT4_P12ihipStream_tbEUlT_E1_NS1_11comp_targetILNS1_3genE8ELNS1_11target_archE1030ELNS1_3gpuE2ELNS1_3repE0EEENS1_30default_config_static_selectorELNS0_4arch9wavefront6targetE0EEEvSI_ ; -- Begin function _ZN7rocprim17ROCPRIM_400000_NS6detail17trampoline_kernelINS0_14default_configENS1_22reduce_config_selectorIN6thrust23THRUST_200600_302600_NS5tupleIbffNS6_9null_typeES8_S8_S8_S8_S8_S8_EEEEZNS1_11reduce_implILb1ES3_PS9_SC_S9_12reduce_tupleIifEEE10hipError_tPvRmT1_T2_T3_mT4_P12ihipStream_tbEUlT_E1_NS1_11comp_targetILNS1_3genE8ELNS1_11target_archE1030ELNS1_3gpuE2ELNS1_3repE0EEENS1_30default_config_static_selectorELNS0_4arch9wavefront6targetE0EEEvSI_
	.globl	_ZN7rocprim17ROCPRIM_400000_NS6detail17trampoline_kernelINS0_14default_configENS1_22reduce_config_selectorIN6thrust23THRUST_200600_302600_NS5tupleIbffNS6_9null_typeES8_S8_S8_S8_S8_S8_EEEEZNS1_11reduce_implILb1ES3_PS9_SC_S9_12reduce_tupleIifEEE10hipError_tPvRmT1_T2_T3_mT4_P12ihipStream_tbEUlT_E1_NS1_11comp_targetILNS1_3genE8ELNS1_11target_archE1030ELNS1_3gpuE2ELNS1_3repE0EEENS1_30default_config_static_selectorELNS0_4arch9wavefront6targetE0EEEvSI_
	.p2align	8
	.type	_ZN7rocprim17ROCPRIM_400000_NS6detail17trampoline_kernelINS0_14default_configENS1_22reduce_config_selectorIN6thrust23THRUST_200600_302600_NS5tupleIbffNS6_9null_typeES8_S8_S8_S8_S8_S8_EEEEZNS1_11reduce_implILb1ES3_PS9_SC_S9_12reduce_tupleIifEEE10hipError_tPvRmT1_T2_T3_mT4_P12ihipStream_tbEUlT_E1_NS1_11comp_targetILNS1_3genE8ELNS1_11target_archE1030ELNS1_3gpuE2ELNS1_3repE0EEENS1_30default_config_static_selectorELNS0_4arch9wavefront6targetE0EEEvSI_,@function
_ZN7rocprim17ROCPRIM_400000_NS6detail17trampoline_kernelINS0_14default_configENS1_22reduce_config_selectorIN6thrust23THRUST_200600_302600_NS5tupleIbffNS6_9null_typeES8_S8_S8_S8_S8_S8_EEEEZNS1_11reduce_implILb1ES3_PS9_SC_S9_12reduce_tupleIifEEE10hipError_tPvRmT1_T2_T3_mT4_P12ihipStream_tbEUlT_E1_NS1_11comp_targetILNS1_3genE8ELNS1_11target_archE1030ELNS1_3gpuE2ELNS1_3repE0EEENS1_30default_config_static_selectorELNS0_4arch9wavefront6targetE0EEEvSI_: ; @_ZN7rocprim17ROCPRIM_400000_NS6detail17trampoline_kernelINS0_14default_configENS1_22reduce_config_selectorIN6thrust23THRUST_200600_302600_NS5tupleIbffNS6_9null_typeES8_S8_S8_S8_S8_S8_EEEEZNS1_11reduce_implILb1ES3_PS9_SC_S9_12reduce_tupleIifEEE10hipError_tPvRmT1_T2_T3_mT4_P12ihipStream_tbEUlT_E1_NS1_11comp_targetILNS1_3genE8ELNS1_11target_archE1030ELNS1_3gpuE2ELNS1_3repE0EEENS1_30default_config_static_selectorELNS0_4arch9wavefront6targetE0EEEvSI_
; %bb.0:
	.section	.rodata,"a",@progbits
	.p2align	6, 0x0
	.amdhsa_kernel _ZN7rocprim17ROCPRIM_400000_NS6detail17trampoline_kernelINS0_14default_configENS1_22reduce_config_selectorIN6thrust23THRUST_200600_302600_NS5tupleIbffNS6_9null_typeES8_S8_S8_S8_S8_S8_EEEEZNS1_11reduce_implILb1ES3_PS9_SC_S9_12reduce_tupleIifEEE10hipError_tPvRmT1_T2_T3_mT4_P12ihipStream_tbEUlT_E1_NS1_11comp_targetILNS1_3genE8ELNS1_11target_archE1030ELNS1_3gpuE2ELNS1_3repE0EEENS1_30default_config_static_selectorELNS0_4arch9wavefront6targetE0EEEvSI_
		.amdhsa_group_segment_fixed_size 0
		.amdhsa_private_segment_fixed_size 0
		.amdhsa_kernarg_size 48
		.amdhsa_user_sgpr_count 15
		.amdhsa_user_sgpr_dispatch_ptr 0
		.amdhsa_user_sgpr_queue_ptr 0
		.amdhsa_user_sgpr_kernarg_segment_ptr 1
		.amdhsa_user_sgpr_dispatch_id 0
		.amdhsa_user_sgpr_private_segment_size 0
		.amdhsa_wavefront_size32 1
		.amdhsa_uses_dynamic_stack 0
		.amdhsa_enable_private_segment 0
		.amdhsa_system_sgpr_workgroup_id_x 1
		.amdhsa_system_sgpr_workgroup_id_y 0
		.amdhsa_system_sgpr_workgroup_id_z 0
		.amdhsa_system_sgpr_workgroup_info 0
		.amdhsa_system_vgpr_workitem_id 0
		.amdhsa_next_free_vgpr 1
		.amdhsa_next_free_sgpr 1
		.amdhsa_reserve_vcc 0
		.amdhsa_float_round_mode_32 0
		.amdhsa_float_round_mode_16_64 0
		.amdhsa_float_denorm_mode_32 3
		.amdhsa_float_denorm_mode_16_64 3
		.amdhsa_dx10_clamp 1
		.amdhsa_ieee_mode 1
		.amdhsa_fp16_overflow 0
		.amdhsa_workgroup_processor_mode 1
		.amdhsa_memory_ordered 1
		.amdhsa_forward_progress 0
		.amdhsa_shared_vgpr_count 0
		.amdhsa_exception_fp_ieee_invalid_op 0
		.amdhsa_exception_fp_denorm_src 0
		.amdhsa_exception_fp_ieee_div_zero 0
		.amdhsa_exception_fp_ieee_overflow 0
		.amdhsa_exception_fp_ieee_underflow 0
		.amdhsa_exception_fp_ieee_inexact 0
		.amdhsa_exception_int_div_zero 0
	.end_amdhsa_kernel
	.section	.text._ZN7rocprim17ROCPRIM_400000_NS6detail17trampoline_kernelINS0_14default_configENS1_22reduce_config_selectorIN6thrust23THRUST_200600_302600_NS5tupleIbffNS6_9null_typeES8_S8_S8_S8_S8_S8_EEEEZNS1_11reduce_implILb1ES3_PS9_SC_S9_12reduce_tupleIifEEE10hipError_tPvRmT1_T2_T3_mT4_P12ihipStream_tbEUlT_E1_NS1_11comp_targetILNS1_3genE8ELNS1_11target_archE1030ELNS1_3gpuE2ELNS1_3repE0EEENS1_30default_config_static_selectorELNS0_4arch9wavefront6targetE0EEEvSI_,"axG",@progbits,_ZN7rocprim17ROCPRIM_400000_NS6detail17trampoline_kernelINS0_14default_configENS1_22reduce_config_selectorIN6thrust23THRUST_200600_302600_NS5tupleIbffNS6_9null_typeES8_S8_S8_S8_S8_S8_EEEEZNS1_11reduce_implILb1ES3_PS9_SC_S9_12reduce_tupleIifEEE10hipError_tPvRmT1_T2_T3_mT4_P12ihipStream_tbEUlT_E1_NS1_11comp_targetILNS1_3genE8ELNS1_11target_archE1030ELNS1_3gpuE2ELNS1_3repE0EEENS1_30default_config_static_selectorELNS0_4arch9wavefront6targetE0EEEvSI_,comdat
.Lfunc_end18:
	.size	_ZN7rocprim17ROCPRIM_400000_NS6detail17trampoline_kernelINS0_14default_configENS1_22reduce_config_selectorIN6thrust23THRUST_200600_302600_NS5tupleIbffNS6_9null_typeES8_S8_S8_S8_S8_S8_EEEEZNS1_11reduce_implILb1ES3_PS9_SC_S9_12reduce_tupleIifEEE10hipError_tPvRmT1_T2_T3_mT4_P12ihipStream_tbEUlT_E1_NS1_11comp_targetILNS1_3genE8ELNS1_11target_archE1030ELNS1_3gpuE2ELNS1_3repE0EEENS1_30default_config_static_selectorELNS0_4arch9wavefront6targetE0EEEvSI_, .Lfunc_end18-_ZN7rocprim17ROCPRIM_400000_NS6detail17trampoline_kernelINS0_14default_configENS1_22reduce_config_selectorIN6thrust23THRUST_200600_302600_NS5tupleIbffNS6_9null_typeES8_S8_S8_S8_S8_S8_EEEEZNS1_11reduce_implILb1ES3_PS9_SC_S9_12reduce_tupleIifEEE10hipError_tPvRmT1_T2_T3_mT4_P12ihipStream_tbEUlT_E1_NS1_11comp_targetILNS1_3genE8ELNS1_11target_archE1030ELNS1_3gpuE2ELNS1_3repE0EEENS1_30default_config_static_selectorELNS0_4arch9wavefront6targetE0EEEvSI_
                                        ; -- End function
	.section	.AMDGPU.csdata,"",@progbits
; Kernel info:
; codeLenInByte = 0
; NumSgprs: 0
; NumVgprs: 0
; ScratchSize: 0
; MemoryBound: 0
; FloatMode: 240
; IeeeMode: 1
; LDSByteSize: 0 bytes/workgroup (compile time only)
; SGPRBlocks: 0
; VGPRBlocks: 0
; NumSGPRsForWavesPerEU: 1
; NumVGPRsForWavesPerEU: 1
; Occupancy: 16
; WaveLimiterHint : 0
; COMPUTE_PGM_RSRC2:SCRATCH_EN: 0
; COMPUTE_PGM_RSRC2:USER_SGPR: 15
; COMPUTE_PGM_RSRC2:TRAP_HANDLER: 0
; COMPUTE_PGM_RSRC2:TGID_X_EN: 1
; COMPUTE_PGM_RSRC2:TGID_Y_EN: 0
; COMPUTE_PGM_RSRC2:TGID_Z_EN: 0
; COMPUTE_PGM_RSRC2:TIDIG_COMP_CNT: 0
	.section	.text._ZN7rocprim17ROCPRIM_400000_NS6detail17trampoline_kernelINS0_14default_configENS1_22reduce_config_selectorIN6thrust23THRUST_200600_302600_NS5tupleIbffNS6_9null_typeES8_S8_S8_S8_S8_S8_EEEEZNS1_11reduce_implILb1ES3_NS6_11hip_rocprim26transform_input_iterator_tIS9_NS6_12zip_iteratorINS7_INS6_17counting_iteratorIiNS6_11use_defaultESG_SG_EENS6_6detail15normal_iteratorINS6_10device_ptrIfEEEES8_S8_S8_S8_S8_S8_S8_S8_EEEE15transform_tupleIifEEEPS9_S9_12reduce_tupleIifEEE10hipError_tPvRmT1_T2_T3_mT4_P12ihipStream_tbEUlT_E0_NS1_11comp_targetILNS1_3genE0ELNS1_11target_archE4294967295ELNS1_3gpuE0ELNS1_3repE0EEENS1_30default_config_static_selectorELNS0_4arch9wavefront6targetE0EEEvSY_,"axG",@progbits,_ZN7rocprim17ROCPRIM_400000_NS6detail17trampoline_kernelINS0_14default_configENS1_22reduce_config_selectorIN6thrust23THRUST_200600_302600_NS5tupleIbffNS6_9null_typeES8_S8_S8_S8_S8_S8_EEEEZNS1_11reduce_implILb1ES3_NS6_11hip_rocprim26transform_input_iterator_tIS9_NS6_12zip_iteratorINS7_INS6_17counting_iteratorIiNS6_11use_defaultESG_SG_EENS6_6detail15normal_iteratorINS6_10device_ptrIfEEEES8_S8_S8_S8_S8_S8_S8_S8_EEEE15transform_tupleIifEEEPS9_S9_12reduce_tupleIifEEE10hipError_tPvRmT1_T2_T3_mT4_P12ihipStream_tbEUlT_E0_NS1_11comp_targetILNS1_3genE0ELNS1_11target_archE4294967295ELNS1_3gpuE0ELNS1_3repE0EEENS1_30default_config_static_selectorELNS0_4arch9wavefront6targetE0EEEvSY_,comdat
	.protected	_ZN7rocprim17ROCPRIM_400000_NS6detail17trampoline_kernelINS0_14default_configENS1_22reduce_config_selectorIN6thrust23THRUST_200600_302600_NS5tupleIbffNS6_9null_typeES8_S8_S8_S8_S8_S8_EEEEZNS1_11reduce_implILb1ES3_NS6_11hip_rocprim26transform_input_iterator_tIS9_NS6_12zip_iteratorINS7_INS6_17counting_iteratorIiNS6_11use_defaultESG_SG_EENS6_6detail15normal_iteratorINS6_10device_ptrIfEEEES8_S8_S8_S8_S8_S8_S8_S8_EEEE15transform_tupleIifEEEPS9_S9_12reduce_tupleIifEEE10hipError_tPvRmT1_T2_T3_mT4_P12ihipStream_tbEUlT_E0_NS1_11comp_targetILNS1_3genE0ELNS1_11target_archE4294967295ELNS1_3gpuE0ELNS1_3repE0EEENS1_30default_config_static_selectorELNS0_4arch9wavefront6targetE0EEEvSY_ ; -- Begin function _ZN7rocprim17ROCPRIM_400000_NS6detail17trampoline_kernelINS0_14default_configENS1_22reduce_config_selectorIN6thrust23THRUST_200600_302600_NS5tupleIbffNS6_9null_typeES8_S8_S8_S8_S8_S8_EEEEZNS1_11reduce_implILb1ES3_NS6_11hip_rocprim26transform_input_iterator_tIS9_NS6_12zip_iteratorINS7_INS6_17counting_iteratorIiNS6_11use_defaultESG_SG_EENS6_6detail15normal_iteratorINS6_10device_ptrIfEEEES8_S8_S8_S8_S8_S8_S8_S8_EEEE15transform_tupleIifEEEPS9_S9_12reduce_tupleIifEEE10hipError_tPvRmT1_T2_T3_mT4_P12ihipStream_tbEUlT_E0_NS1_11comp_targetILNS1_3genE0ELNS1_11target_archE4294967295ELNS1_3gpuE0ELNS1_3repE0EEENS1_30default_config_static_selectorELNS0_4arch9wavefront6targetE0EEEvSY_
	.globl	_ZN7rocprim17ROCPRIM_400000_NS6detail17trampoline_kernelINS0_14default_configENS1_22reduce_config_selectorIN6thrust23THRUST_200600_302600_NS5tupleIbffNS6_9null_typeES8_S8_S8_S8_S8_S8_EEEEZNS1_11reduce_implILb1ES3_NS6_11hip_rocprim26transform_input_iterator_tIS9_NS6_12zip_iteratorINS7_INS6_17counting_iteratorIiNS6_11use_defaultESG_SG_EENS6_6detail15normal_iteratorINS6_10device_ptrIfEEEES8_S8_S8_S8_S8_S8_S8_S8_EEEE15transform_tupleIifEEEPS9_S9_12reduce_tupleIifEEE10hipError_tPvRmT1_T2_T3_mT4_P12ihipStream_tbEUlT_E0_NS1_11comp_targetILNS1_3genE0ELNS1_11target_archE4294967295ELNS1_3gpuE0ELNS1_3repE0EEENS1_30default_config_static_selectorELNS0_4arch9wavefront6targetE0EEEvSY_
	.p2align	8
	.type	_ZN7rocprim17ROCPRIM_400000_NS6detail17trampoline_kernelINS0_14default_configENS1_22reduce_config_selectorIN6thrust23THRUST_200600_302600_NS5tupleIbffNS6_9null_typeES8_S8_S8_S8_S8_S8_EEEEZNS1_11reduce_implILb1ES3_NS6_11hip_rocprim26transform_input_iterator_tIS9_NS6_12zip_iteratorINS7_INS6_17counting_iteratorIiNS6_11use_defaultESG_SG_EENS6_6detail15normal_iteratorINS6_10device_ptrIfEEEES8_S8_S8_S8_S8_S8_S8_S8_EEEE15transform_tupleIifEEEPS9_S9_12reduce_tupleIifEEE10hipError_tPvRmT1_T2_T3_mT4_P12ihipStream_tbEUlT_E0_NS1_11comp_targetILNS1_3genE0ELNS1_11target_archE4294967295ELNS1_3gpuE0ELNS1_3repE0EEENS1_30default_config_static_selectorELNS0_4arch9wavefront6targetE0EEEvSY_,@function
_ZN7rocprim17ROCPRIM_400000_NS6detail17trampoline_kernelINS0_14default_configENS1_22reduce_config_selectorIN6thrust23THRUST_200600_302600_NS5tupleIbffNS6_9null_typeES8_S8_S8_S8_S8_S8_EEEEZNS1_11reduce_implILb1ES3_NS6_11hip_rocprim26transform_input_iterator_tIS9_NS6_12zip_iteratorINS7_INS6_17counting_iteratorIiNS6_11use_defaultESG_SG_EENS6_6detail15normal_iteratorINS6_10device_ptrIfEEEES8_S8_S8_S8_S8_S8_S8_S8_EEEE15transform_tupleIifEEEPS9_S9_12reduce_tupleIifEEE10hipError_tPvRmT1_T2_T3_mT4_P12ihipStream_tbEUlT_E0_NS1_11comp_targetILNS1_3genE0ELNS1_11target_archE4294967295ELNS1_3gpuE0ELNS1_3repE0EEENS1_30default_config_static_selectorELNS0_4arch9wavefront6targetE0EEEvSY_: ; @_ZN7rocprim17ROCPRIM_400000_NS6detail17trampoline_kernelINS0_14default_configENS1_22reduce_config_selectorIN6thrust23THRUST_200600_302600_NS5tupleIbffNS6_9null_typeES8_S8_S8_S8_S8_S8_EEEEZNS1_11reduce_implILb1ES3_NS6_11hip_rocprim26transform_input_iterator_tIS9_NS6_12zip_iteratorINS7_INS6_17counting_iteratorIiNS6_11use_defaultESG_SG_EENS6_6detail15normal_iteratorINS6_10device_ptrIfEEEES8_S8_S8_S8_S8_S8_S8_S8_EEEE15transform_tupleIifEEEPS9_S9_12reduce_tupleIifEEE10hipError_tPvRmT1_T2_T3_mT4_P12ihipStream_tbEUlT_E0_NS1_11comp_targetILNS1_3genE0ELNS1_11target_archE4294967295ELNS1_3gpuE0ELNS1_3repE0EEENS1_30default_config_static_selectorELNS0_4arch9wavefront6targetE0EEEvSY_
; %bb.0:
	.section	.rodata,"a",@progbits
	.p2align	6, 0x0
	.amdhsa_kernel _ZN7rocprim17ROCPRIM_400000_NS6detail17trampoline_kernelINS0_14default_configENS1_22reduce_config_selectorIN6thrust23THRUST_200600_302600_NS5tupleIbffNS6_9null_typeES8_S8_S8_S8_S8_S8_EEEEZNS1_11reduce_implILb1ES3_NS6_11hip_rocprim26transform_input_iterator_tIS9_NS6_12zip_iteratorINS7_INS6_17counting_iteratorIiNS6_11use_defaultESG_SG_EENS6_6detail15normal_iteratorINS6_10device_ptrIfEEEES8_S8_S8_S8_S8_S8_S8_S8_EEEE15transform_tupleIifEEEPS9_S9_12reduce_tupleIifEEE10hipError_tPvRmT1_T2_T3_mT4_P12ihipStream_tbEUlT_E0_NS1_11comp_targetILNS1_3genE0ELNS1_11target_archE4294967295ELNS1_3gpuE0ELNS1_3repE0EEENS1_30default_config_static_selectorELNS0_4arch9wavefront6targetE0EEEvSY_
		.amdhsa_group_segment_fixed_size 0
		.amdhsa_private_segment_fixed_size 0
		.amdhsa_kernarg_size 80
		.amdhsa_user_sgpr_count 15
		.amdhsa_user_sgpr_dispatch_ptr 0
		.amdhsa_user_sgpr_queue_ptr 0
		.amdhsa_user_sgpr_kernarg_segment_ptr 1
		.amdhsa_user_sgpr_dispatch_id 0
		.amdhsa_user_sgpr_private_segment_size 0
		.amdhsa_wavefront_size32 1
		.amdhsa_uses_dynamic_stack 0
		.amdhsa_enable_private_segment 0
		.amdhsa_system_sgpr_workgroup_id_x 1
		.amdhsa_system_sgpr_workgroup_id_y 0
		.amdhsa_system_sgpr_workgroup_id_z 0
		.amdhsa_system_sgpr_workgroup_info 0
		.amdhsa_system_vgpr_workitem_id 0
		.amdhsa_next_free_vgpr 1
		.amdhsa_next_free_sgpr 1
		.amdhsa_reserve_vcc 0
		.amdhsa_float_round_mode_32 0
		.amdhsa_float_round_mode_16_64 0
		.amdhsa_float_denorm_mode_32 3
		.amdhsa_float_denorm_mode_16_64 3
		.amdhsa_dx10_clamp 1
		.amdhsa_ieee_mode 1
		.amdhsa_fp16_overflow 0
		.amdhsa_workgroup_processor_mode 1
		.amdhsa_memory_ordered 1
		.amdhsa_forward_progress 0
		.amdhsa_shared_vgpr_count 0
		.amdhsa_exception_fp_ieee_invalid_op 0
		.amdhsa_exception_fp_denorm_src 0
		.amdhsa_exception_fp_ieee_div_zero 0
		.amdhsa_exception_fp_ieee_overflow 0
		.amdhsa_exception_fp_ieee_underflow 0
		.amdhsa_exception_fp_ieee_inexact 0
		.amdhsa_exception_int_div_zero 0
	.end_amdhsa_kernel
	.section	.text._ZN7rocprim17ROCPRIM_400000_NS6detail17trampoline_kernelINS0_14default_configENS1_22reduce_config_selectorIN6thrust23THRUST_200600_302600_NS5tupleIbffNS6_9null_typeES8_S8_S8_S8_S8_S8_EEEEZNS1_11reduce_implILb1ES3_NS6_11hip_rocprim26transform_input_iterator_tIS9_NS6_12zip_iteratorINS7_INS6_17counting_iteratorIiNS6_11use_defaultESG_SG_EENS6_6detail15normal_iteratorINS6_10device_ptrIfEEEES8_S8_S8_S8_S8_S8_S8_S8_EEEE15transform_tupleIifEEEPS9_S9_12reduce_tupleIifEEE10hipError_tPvRmT1_T2_T3_mT4_P12ihipStream_tbEUlT_E0_NS1_11comp_targetILNS1_3genE0ELNS1_11target_archE4294967295ELNS1_3gpuE0ELNS1_3repE0EEENS1_30default_config_static_selectorELNS0_4arch9wavefront6targetE0EEEvSY_,"axG",@progbits,_ZN7rocprim17ROCPRIM_400000_NS6detail17trampoline_kernelINS0_14default_configENS1_22reduce_config_selectorIN6thrust23THRUST_200600_302600_NS5tupleIbffNS6_9null_typeES8_S8_S8_S8_S8_S8_EEEEZNS1_11reduce_implILb1ES3_NS6_11hip_rocprim26transform_input_iterator_tIS9_NS6_12zip_iteratorINS7_INS6_17counting_iteratorIiNS6_11use_defaultESG_SG_EENS6_6detail15normal_iteratorINS6_10device_ptrIfEEEES8_S8_S8_S8_S8_S8_S8_S8_EEEE15transform_tupleIifEEEPS9_S9_12reduce_tupleIifEEE10hipError_tPvRmT1_T2_T3_mT4_P12ihipStream_tbEUlT_E0_NS1_11comp_targetILNS1_3genE0ELNS1_11target_archE4294967295ELNS1_3gpuE0ELNS1_3repE0EEENS1_30default_config_static_selectorELNS0_4arch9wavefront6targetE0EEEvSY_,comdat
.Lfunc_end19:
	.size	_ZN7rocprim17ROCPRIM_400000_NS6detail17trampoline_kernelINS0_14default_configENS1_22reduce_config_selectorIN6thrust23THRUST_200600_302600_NS5tupleIbffNS6_9null_typeES8_S8_S8_S8_S8_S8_EEEEZNS1_11reduce_implILb1ES3_NS6_11hip_rocprim26transform_input_iterator_tIS9_NS6_12zip_iteratorINS7_INS6_17counting_iteratorIiNS6_11use_defaultESG_SG_EENS6_6detail15normal_iteratorINS6_10device_ptrIfEEEES8_S8_S8_S8_S8_S8_S8_S8_EEEE15transform_tupleIifEEEPS9_S9_12reduce_tupleIifEEE10hipError_tPvRmT1_T2_T3_mT4_P12ihipStream_tbEUlT_E0_NS1_11comp_targetILNS1_3genE0ELNS1_11target_archE4294967295ELNS1_3gpuE0ELNS1_3repE0EEENS1_30default_config_static_selectorELNS0_4arch9wavefront6targetE0EEEvSY_, .Lfunc_end19-_ZN7rocprim17ROCPRIM_400000_NS6detail17trampoline_kernelINS0_14default_configENS1_22reduce_config_selectorIN6thrust23THRUST_200600_302600_NS5tupleIbffNS6_9null_typeES8_S8_S8_S8_S8_S8_EEEEZNS1_11reduce_implILb1ES3_NS6_11hip_rocprim26transform_input_iterator_tIS9_NS6_12zip_iteratorINS7_INS6_17counting_iteratorIiNS6_11use_defaultESG_SG_EENS6_6detail15normal_iteratorINS6_10device_ptrIfEEEES8_S8_S8_S8_S8_S8_S8_S8_EEEE15transform_tupleIifEEEPS9_S9_12reduce_tupleIifEEE10hipError_tPvRmT1_T2_T3_mT4_P12ihipStream_tbEUlT_E0_NS1_11comp_targetILNS1_3genE0ELNS1_11target_archE4294967295ELNS1_3gpuE0ELNS1_3repE0EEENS1_30default_config_static_selectorELNS0_4arch9wavefront6targetE0EEEvSY_
                                        ; -- End function
	.section	.AMDGPU.csdata,"",@progbits
; Kernel info:
; codeLenInByte = 0
; NumSgprs: 0
; NumVgprs: 0
; ScratchSize: 0
; MemoryBound: 0
; FloatMode: 240
; IeeeMode: 1
; LDSByteSize: 0 bytes/workgroup (compile time only)
; SGPRBlocks: 0
; VGPRBlocks: 0
; NumSGPRsForWavesPerEU: 1
; NumVGPRsForWavesPerEU: 1
; Occupancy: 16
; WaveLimiterHint : 0
; COMPUTE_PGM_RSRC2:SCRATCH_EN: 0
; COMPUTE_PGM_RSRC2:USER_SGPR: 15
; COMPUTE_PGM_RSRC2:TRAP_HANDLER: 0
; COMPUTE_PGM_RSRC2:TGID_X_EN: 1
; COMPUTE_PGM_RSRC2:TGID_Y_EN: 0
; COMPUTE_PGM_RSRC2:TGID_Z_EN: 0
; COMPUTE_PGM_RSRC2:TIDIG_COMP_CNT: 0
	.section	.text._ZN7rocprim17ROCPRIM_400000_NS6detail17trampoline_kernelINS0_14default_configENS1_22reduce_config_selectorIN6thrust23THRUST_200600_302600_NS5tupleIbffNS6_9null_typeES8_S8_S8_S8_S8_S8_EEEEZNS1_11reduce_implILb1ES3_NS6_11hip_rocprim26transform_input_iterator_tIS9_NS6_12zip_iteratorINS7_INS6_17counting_iteratorIiNS6_11use_defaultESG_SG_EENS6_6detail15normal_iteratorINS6_10device_ptrIfEEEES8_S8_S8_S8_S8_S8_S8_S8_EEEE15transform_tupleIifEEEPS9_S9_12reduce_tupleIifEEE10hipError_tPvRmT1_T2_T3_mT4_P12ihipStream_tbEUlT_E0_NS1_11comp_targetILNS1_3genE5ELNS1_11target_archE942ELNS1_3gpuE9ELNS1_3repE0EEENS1_30default_config_static_selectorELNS0_4arch9wavefront6targetE0EEEvSY_,"axG",@progbits,_ZN7rocprim17ROCPRIM_400000_NS6detail17trampoline_kernelINS0_14default_configENS1_22reduce_config_selectorIN6thrust23THRUST_200600_302600_NS5tupleIbffNS6_9null_typeES8_S8_S8_S8_S8_S8_EEEEZNS1_11reduce_implILb1ES3_NS6_11hip_rocprim26transform_input_iterator_tIS9_NS6_12zip_iteratorINS7_INS6_17counting_iteratorIiNS6_11use_defaultESG_SG_EENS6_6detail15normal_iteratorINS6_10device_ptrIfEEEES8_S8_S8_S8_S8_S8_S8_S8_EEEE15transform_tupleIifEEEPS9_S9_12reduce_tupleIifEEE10hipError_tPvRmT1_T2_T3_mT4_P12ihipStream_tbEUlT_E0_NS1_11comp_targetILNS1_3genE5ELNS1_11target_archE942ELNS1_3gpuE9ELNS1_3repE0EEENS1_30default_config_static_selectorELNS0_4arch9wavefront6targetE0EEEvSY_,comdat
	.protected	_ZN7rocprim17ROCPRIM_400000_NS6detail17trampoline_kernelINS0_14default_configENS1_22reduce_config_selectorIN6thrust23THRUST_200600_302600_NS5tupleIbffNS6_9null_typeES8_S8_S8_S8_S8_S8_EEEEZNS1_11reduce_implILb1ES3_NS6_11hip_rocprim26transform_input_iterator_tIS9_NS6_12zip_iteratorINS7_INS6_17counting_iteratorIiNS6_11use_defaultESG_SG_EENS6_6detail15normal_iteratorINS6_10device_ptrIfEEEES8_S8_S8_S8_S8_S8_S8_S8_EEEE15transform_tupleIifEEEPS9_S9_12reduce_tupleIifEEE10hipError_tPvRmT1_T2_T3_mT4_P12ihipStream_tbEUlT_E0_NS1_11comp_targetILNS1_3genE5ELNS1_11target_archE942ELNS1_3gpuE9ELNS1_3repE0EEENS1_30default_config_static_selectorELNS0_4arch9wavefront6targetE0EEEvSY_ ; -- Begin function _ZN7rocprim17ROCPRIM_400000_NS6detail17trampoline_kernelINS0_14default_configENS1_22reduce_config_selectorIN6thrust23THRUST_200600_302600_NS5tupleIbffNS6_9null_typeES8_S8_S8_S8_S8_S8_EEEEZNS1_11reduce_implILb1ES3_NS6_11hip_rocprim26transform_input_iterator_tIS9_NS6_12zip_iteratorINS7_INS6_17counting_iteratorIiNS6_11use_defaultESG_SG_EENS6_6detail15normal_iteratorINS6_10device_ptrIfEEEES8_S8_S8_S8_S8_S8_S8_S8_EEEE15transform_tupleIifEEEPS9_S9_12reduce_tupleIifEEE10hipError_tPvRmT1_T2_T3_mT4_P12ihipStream_tbEUlT_E0_NS1_11comp_targetILNS1_3genE5ELNS1_11target_archE942ELNS1_3gpuE9ELNS1_3repE0EEENS1_30default_config_static_selectorELNS0_4arch9wavefront6targetE0EEEvSY_
	.globl	_ZN7rocprim17ROCPRIM_400000_NS6detail17trampoline_kernelINS0_14default_configENS1_22reduce_config_selectorIN6thrust23THRUST_200600_302600_NS5tupleIbffNS6_9null_typeES8_S8_S8_S8_S8_S8_EEEEZNS1_11reduce_implILb1ES3_NS6_11hip_rocprim26transform_input_iterator_tIS9_NS6_12zip_iteratorINS7_INS6_17counting_iteratorIiNS6_11use_defaultESG_SG_EENS6_6detail15normal_iteratorINS6_10device_ptrIfEEEES8_S8_S8_S8_S8_S8_S8_S8_EEEE15transform_tupleIifEEEPS9_S9_12reduce_tupleIifEEE10hipError_tPvRmT1_T2_T3_mT4_P12ihipStream_tbEUlT_E0_NS1_11comp_targetILNS1_3genE5ELNS1_11target_archE942ELNS1_3gpuE9ELNS1_3repE0EEENS1_30default_config_static_selectorELNS0_4arch9wavefront6targetE0EEEvSY_
	.p2align	8
	.type	_ZN7rocprim17ROCPRIM_400000_NS6detail17trampoline_kernelINS0_14default_configENS1_22reduce_config_selectorIN6thrust23THRUST_200600_302600_NS5tupleIbffNS6_9null_typeES8_S8_S8_S8_S8_S8_EEEEZNS1_11reduce_implILb1ES3_NS6_11hip_rocprim26transform_input_iterator_tIS9_NS6_12zip_iteratorINS7_INS6_17counting_iteratorIiNS6_11use_defaultESG_SG_EENS6_6detail15normal_iteratorINS6_10device_ptrIfEEEES8_S8_S8_S8_S8_S8_S8_S8_EEEE15transform_tupleIifEEEPS9_S9_12reduce_tupleIifEEE10hipError_tPvRmT1_T2_T3_mT4_P12ihipStream_tbEUlT_E0_NS1_11comp_targetILNS1_3genE5ELNS1_11target_archE942ELNS1_3gpuE9ELNS1_3repE0EEENS1_30default_config_static_selectorELNS0_4arch9wavefront6targetE0EEEvSY_,@function
_ZN7rocprim17ROCPRIM_400000_NS6detail17trampoline_kernelINS0_14default_configENS1_22reduce_config_selectorIN6thrust23THRUST_200600_302600_NS5tupleIbffNS6_9null_typeES8_S8_S8_S8_S8_S8_EEEEZNS1_11reduce_implILb1ES3_NS6_11hip_rocprim26transform_input_iterator_tIS9_NS6_12zip_iteratorINS7_INS6_17counting_iteratorIiNS6_11use_defaultESG_SG_EENS6_6detail15normal_iteratorINS6_10device_ptrIfEEEES8_S8_S8_S8_S8_S8_S8_S8_EEEE15transform_tupleIifEEEPS9_S9_12reduce_tupleIifEEE10hipError_tPvRmT1_T2_T3_mT4_P12ihipStream_tbEUlT_E0_NS1_11comp_targetILNS1_3genE5ELNS1_11target_archE942ELNS1_3gpuE9ELNS1_3repE0EEENS1_30default_config_static_selectorELNS0_4arch9wavefront6targetE0EEEvSY_: ; @_ZN7rocprim17ROCPRIM_400000_NS6detail17trampoline_kernelINS0_14default_configENS1_22reduce_config_selectorIN6thrust23THRUST_200600_302600_NS5tupleIbffNS6_9null_typeES8_S8_S8_S8_S8_S8_EEEEZNS1_11reduce_implILb1ES3_NS6_11hip_rocprim26transform_input_iterator_tIS9_NS6_12zip_iteratorINS7_INS6_17counting_iteratorIiNS6_11use_defaultESG_SG_EENS6_6detail15normal_iteratorINS6_10device_ptrIfEEEES8_S8_S8_S8_S8_S8_S8_S8_EEEE15transform_tupleIifEEEPS9_S9_12reduce_tupleIifEEE10hipError_tPvRmT1_T2_T3_mT4_P12ihipStream_tbEUlT_E0_NS1_11comp_targetILNS1_3genE5ELNS1_11target_archE942ELNS1_3gpuE9ELNS1_3repE0EEENS1_30default_config_static_selectorELNS0_4arch9wavefront6targetE0EEEvSY_
; %bb.0:
	.section	.rodata,"a",@progbits
	.p2align	6, 0x0
	.amdhsa_kernel _ZN7rocprim17ROCPRIM_400000_NS6detail17trampoline_kernelINS0_14default_configENS1_22reduce_config_selectorIN6thrust23THRUST_200600_302600_NS5tupleIbffNS6_9null_typeES8_S8_S8_S8_S8_S8_EEEEZNS1_11reduce_implILb1ES3_NS6_11hip_rocprim26transform_input_iterator_tIS9_NS6_12zip_iteratorINS7_INS6_17counting_iteratorIiNS6_11use_defaultESG_SG_EENS6_6detail15normal_iteratorINS6_10device_ptrIfEEEES8_S8_S8_S8_S8_S8_S8_S8_EEEE15transform_tupleIifEEEPS9_S9_12reduce_tupleIifEEE10hipError_tPvRmT1_T2_T3_mT4_P12ihipStream_tbEUlT_E0_NS1_11comp_targetILNS1_3genE5ELNS1_11target_archE942ELNS1_3gpuE9ELNS1_3repE0EEENS1_30default_config_static_selectorELNS0_4arch9wavefront6targetE0EEEvSY_
		.amdhsa_group_segment_fixed_size 0
		.amdhsa_private_segment_fixed_size 0
		.amdhsa_kernarg_size 80
		.amdhsa_user_sgpr_count 15
		.amdhsa_user_sgpr_dispatch_ptr 0
		.amdhsa_user_sgpr_queue_ptr 0
		.amdhsa_user_sgpr_kernarg_segment_ptr 1
		.amdhsa_user_sgpr_dispatch_id 0
		.amdhsa_user_sgpr_private_segment_size 0
		.amdhsa_wavefront_size32 1
		.amdhsa_uses_dynamic_stack 0
		.amdhsa_enable_private_segment 0
		.amdhsa_system_sgpr_workgroup_id_x 1
		.amdhsa_system_sgpr_workgroup_id_y 0
		.amdhsa_system_sgpr_workgroup_id_z 0
		.amdhsa_system_sgpr_workgroup_info 0
		.amdhsa_system_vgpr_workitem_id 0
		.amdhsa_next_free_vgpr 1
		.amdhsa_next_free_sgpr 1
		.amdhsa_reserve_vcc 0
		.amdhsa_float_round_mode_32 0
		.amdhsa_float_round_mode_16_64 0
		.amdhsa_float_denorm_mode_32 3
		.amdhsa_float_denorm_mode_16_64 3
		.amdhsa_dx10_clamp 1
		.amdhsa_ieee_mode 1
		.amdhsa_fp16_overflow 0
		.amdhsa_workgroup_processor_mode 1
		.amdhsa_memory_ordered 1
		.amdhsa_forward_progress 0
		.amdhsa_shared_vgpr_count 0
		.amdhsa_exception_fp_ieee_invalid_op 0
		.amdhsa_exception_fp_denorm_src 0
		.amdhsa_exception_fp_ieee_div_zero 0
		.amdhsa_exception_fp_ieee_overflow 0
		.amdhsa_exception_fp_ieee_underflow 0
		.amdhsa_exception_fp_ieee_inexact 0
		.amdhsa_exception_int_div_zero 0
	.end_amdhsa_kernel
	.section	.text._ZN7rocprim17ROCPRIM_400000_NS6detail17trampoline_kernelINS0_14default_configENS1_22reduce_config_selectorIN6thrust23THRUST_200600_302600_NS5tupleIbffNS6_9null_typeES8_S8_S8_S8_S8_S8_EEEEZNS1_11reduce_implILb1ES3_NS6_11hip_rocprim26transform_input_iterator_tIS9_NS6_12zip_iteratorINS7_INS6_17counting_iteratorIiNS6_11use_defaultESG_SG_EENS6_6detail15normal_iteratorINS6_10device_ptrIfEEEES8_S8_S8_S8_S8_S8_S8_S8_EEEE15transform_tupleIifEEEPS9_S9_12reduce_tupleIifEEE10hipError_tPvRmT1_T2_T3_mT4_P12ihipStream_tbEUlT_E0_NS1_11comp_targetILNS1_3genE5ELNS1_11target_archE942ELNS1_3gpuE9ELNS1_3repE0EEENS1_30default_config_static_selectorELNS0_4arch9wavefront6targetE0EEEvSY_,"axG",@progbits,_ZN7rocprim17ROCPRIM_400000_NS6detail17trampoline_kernelINS0_14default_configENS1_22reduce_config_selectorIN6thrust23THRUST_200600_302600_NS5tupleIbffNS6_9null_typeES8_S8_S8_S8_S8_S8_EEEEZNS1_11reduce_implILb1ES3_NS6_11hip_rocprim26transform_input_iterator_tIS9_NS6_12zip_iteratorINS7_INS6_17counting_iteratorIiNS6_11use_defaultESG_SG_EENS6_6detail15normal_iteratorINS6_10device_ptrIfEEEES8_S8_S8_S8_S8_S8_S8_S8_EEEE15transform_tupleIifEEEPS9_S9_12reduce_tupleIifEEE10hipError_tPvRmT1_T2_T3_mT4_P12ihipStream_tbEUlT_E0_NS1_11comp_targetILNS1_3genE5ELNS1_11target_archE942ELNS1_3gpuE9ELNS1_3repE0EEENS1_30default_config_static_selectorELNS0_4arch9wavefront6targetE0EEEvSY_,comdat
.Lfunc_end20:
	.size	_ZN7rocprim17ROCPRIM_400000_NS6detail17trampoline_kernelINS0_14default_configENS1_22reduce_config_selectorIN6thrust23THRUST_200600_302600_NS5tupleIbffNS6_9null_typeES8_S8_S8_S8_S8_S8_EEEEZNS1_11reduce_implILb1ES3_NS6_11hip_rocprim26transform_input_iterator_tIS9_NS6_12zip_iteratorINS7_INS6_17counting_iteratorIiNS6_11use_defaultESG_SG_EENS6_6detail15normal_iteratorINS6_10device_ptrIfEEEES8_S8_S8_S8_S8_S8_S8_S8_EEEE15transform_tupleIifEEEPS9_S9_12reduce_tupleIifEEE10hipError_tPvRmT1_T2_T3_mT4_P12ihipStream_tbEUlT_E0_NS1_11comp_targetILNS1_3genE5ELNS1_11target_archE942ELNS1_3gpuE9ELNS1_3repE0EEENS1_30default_config_static_selectorELNS0_4arch9wavefront6targetE0EEEvSY_, .Lfunc_end20-_ZN7rocprim17ROCPRIM_400000_NS6detail17trampoline_kernelINS0_14default_configENS1_22reduce_config_selectorIN6thrust23THRUST_200600_302600_NS5tupleIbffNS6_9null_typeES8_S8_S8_S8_S8_S8_EEEEZNS1_11reduce_implILb1ES3_NS6_11hip_rocprim26transform_input_iterator_tIS9_NS6_12zip_iteratorINS7_INS6_17counting_iteratorIiNS6_11use_defaultESG_SG_EENS6_6detail15normal_iteratorINS6_10device_ptrIfEEEES8_S8_S8_S8_S8_S8_S8_S8_EEEE15transform_tupleIifEEEPS9_S9_12reduce_tupleIifEEE10hipError_tPvRmT1_T2_T3_mT4_P12ihipStream_tbEUlT_E0_NS1_11comp_targetILNS1_3genE5ELNS1_11target_archE942ELNS1_3gpuE9ELNS1_3repE0EEENS1_30default_config_static_selectorELNS0_4arch9wavefront6targetE0EEEvSY_
                                        ; -- End function
	.section	.AMDGPU.csdata,"",@progbits
; Kernel info:
; codeLenInByte = 0
; NumSgprs: 0
; NumVgprs: 0
; ScratchSize: 0
; MemoryBound: 0
; FloatMode: 240
; IeeeMode: 1
; LDSByteSize: 0 bytes/workgroup (compile time only)
; SGPRBlocks: 0
; VGPRBlocks: 0
; NumSGPRsForWavesPerEU: 1
; NumVGPRsForWavesPerEU: 1
; Occupancy: 16
; WaveLimiterHint : 0
; COMPUTE_PGM_RSRC2:SCRATCH_EN: 0
; COMPUTE_PGM_RSRC2:USER_SGPR: 15
; COMPUTE_PGM_RSRC2:TRAP_HANDLER: 0
; COMPUTE_PGM_RSRC2:TGID_X_EN: 1
; COMPUTE_PGM_RSRC2:TGID_Y_EN: 0
; COMPUTE_PGM_RSRC2:TGID_Z_EN: 0
; COMPUTE_PGM_RSRC2:TIDIG_COMP_CNT: 0
	.section	.text._ZN7rocprim17ROCPRIM_400000_NS6detail17trampoline_kernelINS0_14default_configENS1_22reduce_config_selectorIN6thrust23THRUST_200600_302600_NS5tupleIbffNS6_9null_typeES8_S8_S8_S8_S8_S8_EEEEZNS1_11reduce_implILb1ES3_NS6_11hip_rocprim26transform_input_iterator_tIS9_NS6_12zip_iteratorINS7_INS6_17counting_iteratorIiNS6_11use_defaultESG_SG_EENS6_6detail15normal_iteratorINS6_10device_ptrIfEEEES8_S8_S8_S8_S8_S8_S8_S8_EEEE15transform_tupleIifEEEPS9_S9_12reduce_tupleIifEEE10hipError_tPvRmT1_T2_T3_mT4_P12ihipStream_tbEUlT_E0_NS1_11comp_targetILNS1_3genE4ELNS1_11target_archE910ELNS1_3gpuE8ELNS1_3repE0EEENS1_30default_config_static_selectorELNS0_4arch9wavefront6targetE0EEEvSY_,"axG",@progbits,_ZN7rocprim17ROCPRIM_400000_NS6detail17trampoline_kernelINS0_14default_configENS1_22reduce_config_selectorIN6thrust23THRUST_200600_302600_NS5tupleIbffNS6_9null_typeES8_S8_S8_S8_S8_S8_EEEEZNS1_11reduce_implILb1ES3_NS6_11hip_rocprim26transform_input_iterator_tIS9_NS6_12zip_iteratorINS7_INS6_17counting_iteratorIiNS6_11use_defaultESG_SG_EENS6_6detail15normal_iteratorINS6_10device_ptrIfEEEES8_S8_S8_S8_S8_S8_S8_S8_EEEE15transform_tupleIifEEEPS9_S9_12reduce_tupleIifEEE10hipError_tPvRmT1_T2_T3_mT4_P12ihipStream_tbEUlT_E0_NS1_11comp_targetILNS1_3genE4ELNS1_11target_archE910ELNS1_3gpuE8ELNS1_3repE0EEENS1_30default_config_static_selectorELNS0_4arch9wavefront6targetE0EEEvSY_,comdat
	.protected	_ZN7rocprim17ROCPRIM_400000_NS6detail17trampoline_kernelINS0_14default_configENS1_22reduce_config_selectorIN6thrust23THRUST_200600_302600_NS5tupleIbffNS6_9null_typeES8_S8_S8_S8_S8_S8_EEEEZNS1_11reduce_implILb1ES3_NS6_11hip_rocprim26transform_input_iterator_tIS9_NS6_12zip_iteratorINS7_INS6_17counting_iteratorIiNS6_11use_defaultESG_SG_EENS6_6detail15normal_iteratorINS6_10device_ptrIfEEEES8_S8_S8_S8_S8_S8_S8_S8_EEEE15transform_tupleIifEEEPS9_S9_12reduce_tupleIifEEE10hipError_tPvRmT1_T2_T3_mT4_P12ihipStream_tbEUlT_E0_NS1_11comp_targetILNS1_3genE4ELNS1_11target_archE910ELNS1_3gpuE8ELNS1_3repE0EEENS1_30default_config_static_selectorELNS0_4arch9wavefront6targetE0EEEvSY_ ; -- Begin function _ZN7rocprim17ROCPRIM_400000_NS6detail17trampoline_kernelINS0_14default_configENS1_22reduce_config_selectorIN6thrust23THRUST_200600_302600_NS5tupleIbffNS6_9null_typeES8_S8_S8_S8_S8_S8_EEEEZNS1_11reduce_implILb1ES3_NS6_11hip_rocprim26transform_input_iterator_tIS9_NS6_12zip_iteratorINS7_INS6_17counting_iteratorIiNS6_11use_defaultESG_SG_EENS6_6detail15normal_iteratorINS6_10device_ptrIfEEEES8_S8_S8_S8_S8_S8_S8_S8_EEEE15transform_tupleIifEEEPS9_S9_12reduce_tupleIifEEE10hipError_tPvRmT1_T2_T3_mT4_P12ihipStream_tbEUlT_E0_NS1_11comp_targetILNS1_3genE4ELNS1_11target_archE910ELNS1_3gpuE8ELNS1_3repE0EEENS1_30default_config_static_selectorELNS0_4arch9wavefront6targetE0EEEvSY_
	.globl	_ZN7rocprim17ROCPRIM_400000_NS6detail17trampoline_kernelINS0_14default_configENS1_22reduce_config_selectorIN6thrust23THRUST_200600_302600_NS5tupleIbffNS6_9null_typeES8_S8_S8_S8_S8_S8_EEEEZNS1_11reduce_implILb1ES3_NS6_11hip_rocprim26transform_input_iterator_tIS9_NS6_12zip_iteratorINS7_INS6_17counting_iteratorIiNS6_11use_defaultESG_SG_EENS6_6detail15normal_iteratorINS6_10device_ptrIfEEEES8_S8_S8_S8_S8_S8_S8_S8_EEEE15transform_tupleIifEEEPS9_S9_12reduce_tupleIifEEE10hipError_tPvRmT1_T2_T3_mT4_P12ihipStream_tbEUlT_E0_NS1_11comp_targetILNS1_3genE4ELNS1_11target_archE910ELNS1_3gpuE8ELNS1_3repE0EEENS1_30default_config_static_selectorELNS0_4arch9wavefront6targetE0EEEvSY_
	.p2align	8
	.type	_ZN7rocprim17ROCPRIM_400000_NS6detail17trampoline_kernelINS0_14default_configENS1_22reduce_config_selectorIN6thrust23THRUST_200600_302600_NS5tupleIbffNS6_9null_typeES8_S8_S8_S8_S8_S8_EEEEZNS1_11reduce_implILb1ES3_NS6_11hip_rocprim26transform_input_iterator_tIS9_NS6_12zip_iteratorINS7_INS6_17counting_iteratorIiNS6_11use_defaultESG_SG_EENS6_6detail15normal_iteratorINS6_10device_ptrIfEEEES8_S8_S8_S8_S8_S8_S8_S8_EEEE15transform_tupleIifEEEPS9_S9_12reduce_tupleIifEEE10hipError_tPvRmT1_T2_T3_mT4_P12ihipStream_tbEUlT_E0_NS1_11comp_targetILNS1_3genE4ELNS1_11target_archE910ELNS1_3gpuE8ELNS1_3repE0EEENS1_30default_config_static_selectorELNS0_4arch9wavefront6targetE0EEEvSY_,@function
_ZN7rocprim17ROCPRIM_400000_NS6detail17trampoline_kernelINS0_14default_configENS1_22reduce_config_selectorIN6thrust23THRUST_200600_302600_NS5tupleIbffNS6_9null_typeES8_S8_S8_S8_S8_S8_EEEEZNS1_11reduce_implILb1ES3_NS6_11hip_rocprim26transform_input_iterator_tIS9_NS6_12zip_iteratorINS7_INS6_17counting_iteratorIiNS6_11use_defaultESG_SG_EENS6_6detail15normal_iteratorINS6_10device_ptrIfEEEES8_S8_S8_S8_S8_S8_S8_S8_EEEE15transform_tupleIifEEEPS9_S9_12reduce_tupleIifEEE10hipError_tPvRmT1_T2_T3_mT4_P12ihipStream_tbEUlT_E0_NS1_11comp_targetILNS1_3genE4ELNS1_11target_archE910ELNS1_3gpuE8ELNS1_3repE0EEENS1_30default_config_static_selectorELNS0_4arch9wavefront6targetE0EEEvSY_: ; @_ZN7rocprim17ROCPRIM_400000_NS6detail17trampoline_kernelINS0_14default_configENS1_22reduce_config_selectorIN6thrust23THRUST_200600_302600_NS5tupleIbffNS6_9null_typeES8_S8_S8_S8_S8_S8_EEEEZNS1_11reduce_implILb1ES3_NS6_11hip_rocprim26transform_input_iterator_tIS9_NS6_12zip_iteratorINS7_INS6_17counting_iteratorIiNS6_11use_defaultESG_SG_EENS6_6detail15normal_iteratorINS6_10device_ptrIfEEEES8_S8_S8_S8_S8_S8_S8_S8_EEEE15transform_tupleIifEEEPS9_S9_12reduce_tupleIifEEE10hipError_tPvRmT1_T2_T3_mT4_P12ihipStream_tbEUlT_E0_NS1_11comp_targetILNS1_3genE4ELNS1_11target_archE910ELNS1_3gpuE8ELNS1_3repE0EEENS1_30default_config_static_selectorELNS0_4arch9wavefront6targetE0EEEvSY_
; %bb.0:
	.section	.rodata,"a",@progbits
	.p2align	6, 0x0
	.amdhsa_kernel _ZN7rocprim17ROCPRIM_400000_NS6detail17trampoline_kernelINS0_14default_configENS1_22reduce_config_selectorIN6thrust23THRUST_200600_302600_NS5tupleIbffNS6_9null_typeES8_S8_S8_S8_S8_S8_EEEEZNS1_11reduce_implILb1ES3_NS6_11hip_rocprim26transform_input_iterator_tIS9_NS6_12zip_iteratorINS7_INS6_17counting_iteratorIiNS6_11use_defaultESG_SG_EENS6_6detail15normal_iteratorINS6_10device_ptrIfEEEES8_S8_S8_S8_S8_S8_S8_S8_EEEE15transform_tupleIifEEEPS9_S9_12reduce_tupleIifEEE10hipError_tPvRmT1_T2_T3_mT4_P12ihipStream_tbEUlT_E0_NS1_11comp_targetILNS1_3genE4ELNS1_11target_archE910ELNS1_3gpuE8ELNS1_3repE0EEENS1_30default_config_static_selectorELNS0_4arch9wavefront6targetE0EEEvSY_
		.amdhsa_group_segment_fixed_size 0
		.amdhsa_private_segment_fixed_size 0
		.amdhsa_kernarg_size 80
		.amdhsa_user_sgpr_count 15
		.amdhsa_user_sgpr_dispatch_ptr 0
		.amdhsa_user_sgpr_queue_ptr 0
		.amdhsa_user_sgpr_kernarg_segment_ptr 1
		.amdhsa_user_sgpr_dispatch_id 0
		.amdhsa_user_sgpr_private_segment_size 0
		.amdhsa_wavefront_size32 1
		.amdhsa_uses_dynamic_stack 0
		.amdhsa_enable_private_segment 0
		.amdhsa_system_sgpr_workgroup_id_x 1
		.amdhsa_system_sgpr_workgroup_id_y 0
		.amdhsa_system_sgpr_workgroup_id_z 0
		.amdhsa_system_sgpr_workgroup_info 0
		.amdhsa_system_vgpr_workitem_id 0
		.amdhsa_next_free_vgpr 1
		.amdhsa_next_free_sgpr 1
		.amdhsa_reserve_vcc 0
		.amdhsa_float_round_mode_32 0
		.amdhsa_float_round_mode_16_64 0
		.amdhsa_float_denorm_mode_32 3
		.amdhsa_float_denorm_mode_16_64 3
		.amdhsa_dx10_clamp 1
		.amdhsa_ieee_mode 1
		.amdhsa_fp16_overflow 0
		.amdhsa_workgroup_processor_mode 1
		.amdhsa_memory_ordered 1
		.amdhsa_forward_progress 0
		.amdhsa_shared_vgpr_count 0
		.amdhsa_exception_fp_ieee_invalid_op 0
		.amdhsa_exception_fp_denorm_src 0
		.amdhsa_exception_fp_ieee_div_zero 0
		.amdhsa_exception_fp_ieee_overflow 0
		.amdhsa_exception_fp_ieee_underflow 0
		.amdhsa_exception_fp_ieee_inexact 0
		.amdhsa_exception_int_div_zero 0
	.end_amdhsa_kernel
	.section	.text._ZN7rocprim17ROCPRIM_400000_NS6detail17trampoline_kernelINS0_14default_configENS1_22reduce_config_selectorIN6thrust23THRUST_200600_302600_NS5tupleIbffNS6_9null_typeES8_S8_S8_S8_S8_S8_EEEEZNS1_11reduce_implILb1ES3_NS6_11hip_rocprim26transform_input_iterator_tIS9_NS6_12zip_iteratorINS7_INS6_17counting_iteratorIiNS6_11use_defaultESG_SG_EENS6_6detail15normal_iteratorINS6_10device_ptrIfEEEES8_S8_S8_S8_S8_S8_S8_S8_EEEE15transform_tupleIifEEEPS9_S9_12reduce_tupleIifEEE10hipError_tPvRmT1_T2_T3_mT4_P12ihipStream_tbEUlT_E0_NS1_11comp_targetILNS1_3genE4ELNS1_11target_archE910ELNS1_3gpuE8ELNS1_3repE0EEENS1_30default_config_static_selectorELNS0_4arch9wavefront6targetE0EEEvSY_,"axG",@progbits,_ZN7rocprim17ROCPRIM_400000_NS6detail17trampoline_kernelINS0_14default_configENS1_22reduce_config_selectorIN6thrust23THRUST_200600_302600_NS5tupleIbffNS6_9null_typeES8_S8_S8_S8_S8_S8_EEEEZNS1_11reduce_implILb1ES3_NS6_11hip_rocprim26transform_input_iterator_tIS9_NS6_12zip_iteratorINS7_INS6_17counting_iteratorIiNS6_11use_defaultESG_SG_EENS6_6detail15normal_iteratorINS6_10device_ptrIfEEEES8_S8_S8_S8_S8_S8_S8_S8_EEEE15transform_tupleIifEEEPS9_S9_12reduce_tupleIifEEE10hipError_tPvRmT1_T2_T3_mT4_P12ihipStream_tbEUlT_E0_NS1_11comp_targetILNS1_3genE4ELNS1_11target_archE910ELNS1_3gpuE8ELNS1_3repE0EEENS1_30default_config_static_selectorELNS0_4arch9wavefront6targetE0EEEvSY_,comdat
.Lfunc_end21:
	.size	_ZN7rocprim17ROCPRIM_400000_NS6detail17trampoline_kernelINS0_14default_configENS1_22reduce_config_selectorIN6thrust23THRUST_200600_302600_NS5tupleIbffNS6_9null_typeES8_S8_S8_S8_S8_S8_EEEEZNS1_11reduce_implILb1ES3_NS6_11hip_rocprim26transform_input_iterator_tIS9_NS6_12zip_iteratorINS7_INS6_17counting_iteratorIiNS6_11use_defaultESG_SG_EENS6_6detail15normal_iteratorINS6_10device_ptrIfEEEES8_S8_S8_S8_S8_S8_S8_S8_EEEE15transform_tupleIifEEEPS9_S9_12reduce_tupleIifEEE10hipError_tPvRmT1_T2_T3_mT4_P12ihipStream_tbEUlT_E0_NS1_11comp_targetILNS1_3genE4ELNS1_11target_archE910ELNS1_3gpuE8ELNS1_3repE0EEENS1_30default_config_static_selectorELNS0_4arch9wavefront6targetE0EEEvSY_, .Lfunc_end21-_ZN7rocprim17ROCPRIM_400000_NS6detail17trampoline_kernelINS0_14default_configENS1_22reduce_config_selectorIN6thrust23THRUST_200600_302600_NS5tupleIbffNS6_9null_typeES8_S8_S8_S8_S8_S8_EEEEZNS1_11reduce_implILb1ES3_NS6_11hip_rocprim26transform_input_iterator_tIS9_NS6_12zip_iteratorINS7_INS6_17counting_iteratorIiNS6_11use_defaultESG_SG_EENS6_6detail15normal_iteratorINS6_10device_ptrIfEEEES8_S8_S8_S8_S8_S8_S8_S8_EEEE15transform_tupleIifEEEPS9_S9_12reduce_tupleIifEEE10hipError_tPvRmT1_T2_T3_mT4_P12ihipStream_tbEUlT_E0_NS1_11comp_targetILNS1_3genE4ELNS1_11target_archE910ELNS1_3gpuE8ELNS1_3repE0EEENS1_30default_config_static_selectorELNS0_4arch9wavefront6targetE0EEEvSY_
                                        ; -- End function
	.section	.AMDGPU.csdata,"",@progbits
; Kernel info:
; codeLenInByte = 0
; NumSgprs: 0
; NumVgprs: 0
; ScratchSize: 0
; MemoryBound: 0
; FloatMode: 240
; IeeeMode: 1
; LDSByteSize: 0 bytes/workgroup (compile time only)
; SGPRBlocks: 0
; VGPRBlocks: 0
; NumSGPRsForWavesPerEU: 1
; NumVGPRsForWavesPerEU: 1
; Occupancy: 16
; WaveLimiterHint : 0
; COMPUTE_PGM_RSRC2:SCRATCH_EN: 0
; COMPUTE_PGM_RSRC2:USER_SGPR: 15
; COMPUTE_PGM_RSRC2:TRAP_HANDLER: 0
; COMPUTE_PGM_RSRC2:TGID_X_EN: 1
; COMPUTE_PGM_RSRC2:TGID_Y_EN: 0
; COMPUTE_PGM_RSRC2:TGID_Z_EN: 0
; COMPUTE_PGM_RSRC2:TIDIG_COMP_CNT: 0
	.section	.text._ZN7rocprim17ROCPRIM_400000_NS6detail17trampoline_kernelINS0_14default_configENS1_22reduce_config_selectorIN6thrust23THRUST_200600_302600_NS5tupleIbffNS6_9null_typeES8_S8_S8_S8_S8_S8_EEEEZNS1_11reduce_implILb1ES3_NS6_11hip_rocprim26transform_input_iterator_tIS9_NS6_12zip_iteratorINS7_INS6_17counting_iteratorIiNS6_11use_defaultESG_SG_EENS6_6detail15normal_iteratorINS6_10device_ptrIfEEEES8_S8_S8_S8_S8_S8_S8_S8_EEEE15transform_tupleIifEEEPS9_S9_12reduce_tupleIifEEE10hipError_tPvRmT1_T2_T3_mT4_P12ihipStream_tbEUlT_E0_NS1_11comp_targetILNS1_3genE3ELNS1_11target_archE908ELNS1_3gpuE7ELNS1_3repE0EEENS1_30default_config_static_selectorELNS0_4arch9wavefront6targetE0EEEvSY_,"axG",@progbits,_ZN7rocprim17ROCPRIM_400000_NS6detail17trampoline_kernelINS0_14default_configENS1_22reduce_config_selectorIN6thrust23THRUST_200600_302600_NS5tupleIbffNS6_9null_typeES8_S8_S8_S8_S8_S8_EEEEZNS1_11reduce_implILb1ES3_NS6_11hip_rocprim26transform_input_iterator_tIS9_NS6_12zip_iteratorINS7_INS6_17counting_iteratorIiNS6_11use_defaultESG_SG_EENS6_6detail15normal_iteratorINS6_10device_ptrIfEEEES8_S8_S8_S8_S8_S8_S8_S8_EEEE15transform_tupleIifEEEPS9_S9_12reduce_tupleIifEEE10hipError_tPvRmT1_T2_T3_mT4_P12ihipStream_tbEUlT_E0_NS1_11comp_targetILNS1_3genE3ELNS1_11target_archE908ELNS1_3gpuE7ELNS1_3repE0EEENS1_30default_config_static_selectorELNS0_4arch9wavefront6targetE0EEEvSY_,comdat
	.protected	_ZN7rocprim17ROCPRIM_400000_NS6detail17trampoline_kernelINS0_14default_configENS1_22reduce_config_selectorIN6thrust23THRUST_200600_302600_NS5tupleIbffNS6_9null_typeES8_S8_S8_S8_S8_S8_EEEEZNS1_11reduce_implILb1ES3_NS6_11hip_rocprim26transform_input_iterator_tIS9_NS6_12zip_iteratorINS7_INS6_17counting_iteratorIiNS6_11use_defaultESG_SG_EENS6_6detail15normal_iteratorINS6_10device_ptrIfEEEES8_S8_S8_S8_S8_S8_S8_S8_EEEE15transform_tupleIifEEEPS9_S9_12reduce_tupleIifEEE10hipError_tPvRmT1_T2_T3_mT4_P12ihipStream_tbEUlT_E0_NS1_11comp_targetILNS1_3genE3ELNS1_11target_archE908ELNS1_3gpuE7ELNS1_3repE0EEENS1_30default_config_static_selectorELNS0_4arch9wavefront6targetE0EEEvSY_ ; -- Begin function _ZN7rocprim17ROCPRIM_400000_NS6detail17trampoline_kernelINS0_14default_configENS1_22reduce_config_selectorIN6thrust23THRUST_200600_302600_NS5tupleIbffNS6_9null_typeES8_S8_S8_S8_S8_S8_EEEEZNS1_11reduce_implILb1ES3_NS6_11hip_rocprim26transform_input_iterator_tIS9_NS6_12zip_iteratorINS7_INS6_17counting_iteratorIiNS6_11use_defaultESG_SG_EENS6_6detail15normal_iteratorINS6_10device_ptrIfEEEES8_S8_S8_S8_S8_S8_S8_S8_EEEE15transform_tupleIifEEEPS9_S9_12reduce_tupleIifEEE10hipError_tPvRmT1_T2_T3_mT4_P12ihipStream_tbEUlT_E0_NS1_11comp_targetILNS1_3genE3ELNS1_11target_archE908ELNS1_3gpuE7ELNS1_3repE0EEENS1_30default_config_static_selectorELNS0_4arch9wavefront6targetE0EEEvSY_
	.globl	_ZN7rocprim17ROCPRIM_400000_NS6detail17trampoline_kernelINS0_14default_configENS1_22reduce_config_selectorIN6thrust23THRUST_200600_302600_NS5tupleIbffNS6_9null_typeES8_S8_S8_S8_S8_S8_EEEEZNS1_11reduce_implILb1ES3_NS6_11hip_rocprim26transform_input_iterator_tIS9_NS6_12zip_iteratorINS7_INS6_17counting_iteratorIiNS6_11use_defaultESG_SG_EENS6_6detail15normal_iteratorINS6_10device_ptrIfEEEES8_S8_S8_S8_S8_S8_S8_S8_EEEE15transform_tupleIifEEEPS9_S9_12reduce_tupleIifEEE10hipError_tPvRmT1_T2_T3_mT4_P12ihipStream_tbEUlT_E0_NS1_11comp_targetILNS1_3genE3ELNS1_11target_archE908ELNS1_3gpuE7ELNS1_3repE0EEENS1_30default_config_static_selectorELNS0_4arch9wavefront6targetE0EEEvSY_
	.p2align	8
	.type	_ZN7rocprim17ROCPRIM_400000_NS6detail17trampoline_kernelINS0_14default_configENS1_22reduce_config_selectorIN6thrust23THRUST_200600_302600_NS5tupleIbffNS6_9null_typeES8_S8_S8_S8_S8_S8_EEEEZNS1_11reduce_implILb1ES3_NS6_11hip_rocprim26transform_input_iterator_tIS9_NS6_12zip_iteratorINS7_INS6_17counting_iteratorIiNS6_11use_defaultESG_SG_EENS6_6detail15normal_iteratorINS6_10device_ptrIfEEEES8_S8_S8_S8_S8_S8_S8_S8_EEEE15transform_tupleIifEEEPS9_S9_12reduce_tupleIifEEE10hipError_tPvRmT1_T2_T3_mT4_P12ihipStream_tbEUlT_E0_NS1_11comp_targetILNS1_3genE3ELNS1_11target_archE908ELNS1_3gpuE7ELNS1_3repE0EEENS1_30default_config_static_selectorELNS0_4arch9wavefront6targetE0EEEvSY_,@function
_ZN7rocprim17ROCPRIM_400000_NS6detail17trampoline_kernelINS0_14default_configENS1_22reduce_config_selectorIN6thrust23THRUST_200600_302600_NS5tupleIbffNS6_9null_typeES8_S8_S8_S8_S8_S8_EEEEZNS1_11reduce_implILb1ES3_NS6_11hip_rocprim26transform_input_iterator_tIS9_NS6_12zip_iteratorINS7_INS6_17counting_iteratorIiNS6_11use_defaultESG_SG_EENS6_6detail15normal_iteratorINS6_10device_ptrIfEEEES8_S8_S8_S8_S8_S8_S8_S8_EEEE15transform_tupleIifEEEPS9_S9_12reduce_tupleIifEEE10hipError_tPvRmT1_T2_T3_mT4_P12ihipStream_tbEUlT_E0_NS1_11comp_targetILNS1_3genE3ELNS1_11target_archE908ELNS1_3gpuE7ELNS1_3repE0EEENS1_30default_config_static_selectorELNS0_4arch9wavefront6targetE0EEEvSY_: ; @_ZN7rocprim17ROCPRIM_400000_NS6detail17trampoline_kernelINS0_14default_configENS1_22reduce_config_selectorIN6thrust23THRUST_200600_302600_NS5tupleIbffNS6_9null_typeES8_S8_S8_S8_S8_S8_EEEEZNS1_11reduce_implILb1ES3_NS6_11hip_rocprim26transform_input_iterator_tIS9_NS6_12zip_iteratorINS7_INS6_17counting_iteratorIiNS6_11use_defaultESG_SG_EENS6_6detail15normal_iteratorINS6_10device_ptrIfEEEES8_S8_S8_S8_S8_S8_S8_S8_EEEE15transform_tupleIifEEEPS9_S9_12reduce_tupleIifEEE10hipError_tPvRmT1_T2_T3_mT4_P12ihipStream_tbEUlT_E0_NS1_11comp_targetILNS1_3genE3ELNS1_11target_archE908ELNS1_3gpuE7ELNS1_3repE0EEENS1_30default_config_static_selectorELNS0_4arch9wavefront6targetE0EEEvSY_
; %bb.0:
	.section	.rodata,"a",@progbits
	.p2align	6, 0x0
	.amdhsa_kernel _ZN7rocprim17ROCPRIM_400000_NS6detail17trampoline_kernelINS0_14default_configENS1_22reduce_config_selectorIN6thrust23THRUST_200600_302600_NS5tupleIbffNS6_9null_typeES8_S8_S8_S8_S8_S8_EEEEZNS1_11reduce_implILb1ES3_NS6_11hip_rocprim26transform_input_iterator_tIS9_NS6_12zip_iteratorINS7_INS6_17counting_iteratorIiNS6_11use_defaultESG_SG_EENS6_6detail15normal_iteratorINS6_10device_ptrIfEEEES8_S8_S8_S8_S8_S8_S8_S8_EEEE15transform_tupleIifEEEPS9_S9_12reduce_tupleIifEEE10hipError_tPvRmT1_T2_T3_mT4_P12ihipStream_tbEUlT_E0_NS1_11comp_targetILNS1_3genE3ELNS1_11target_archE908ELNS1_3gpuE7ELNS1_3repE0EEENS1_30default_config_static_selectorELNS0_4arch9wavefront6targetE0EEEvSY_
		.amdhsa_group_segment_fixed_size 0
		.amdhsa_private_segment_fixed_size 0
		.amdhsa_kernarg_size 80
		.amdhsa_user_sgpr_count 15
		.amdhsa_user_sgpr_dispatch_ptr 0
		.amdhsa_user_sgpr_queue_ptr 0
		.amdhsa_user_sgpr_kernarg_segment_ptr 1
		.amdhsa_user_sgpr_dispatch_id 0
		.amdhsa_user_sgpr_private_segment_size 0
		.amdhsa_wavefront_size32 1
		.amdhsa_uses_dynamic_stack 0
		.amdhsa_enable_private_segment 0
		.amdhsa_system_sgpr_workgroup_id_x 1
		.amdhsa_system_sgpr_workgroup_id_y 0
		.amdhsa_system_sgpr_workgroup_id_z 0
		.amdhsa_system_sgpr_workgroup_info 0
		.amdhsa_system_vgpr_workitem_id 0
		.amdhsa_next_free_vgpr 1
		.amdhsa_next_free_sgpr 1
		.amdhsa_reserve_vcc 0
		.amdhsa_float_round_mode_32 0
		.amdhsa_float_round_mode_16_64 0
		.amdhsa_float_denorm_mode_32 3
		.amdhsa_float_denorm_mode_16_64 3
		.amdhsa_dx10_clamp 1
		.amdhsa_ieee_mode 1
		.amdhsa_fp16_overflow 0
		.amdhsa_workgroup_processor_mode 1
		.amdhsa_memory_ordered 1
		.amdhsa_forward_progress 0
		.amdhsa_shared_vgpr_count 0
		.amdhsa_exception_fp_ieee_invalid_op 0
		.amdhsa_exception_fp_denorm_src 0
		.amdhsa_exception_fp_ieee_div_zero 0
		.amdhsa_exception_fp_ieee_overflow 0
		.amdhsa_exception_fp_ieee_underflow 0
		.amdhsa_exception_fp_ieee_inexact 0
		.amdhsa_exception_int_div_zero 0
	.end_amdhsa_kernel
	.section	.text._ZN7rocprim17ROCPRIM_400000_NS6detail17trampoline_kernelINS0_14default_configENS1_22reduce_config_selectorIN6thrust23THRUST_200600_302600_NS5tupleIbffNS6_9null_typeES8_S8_S8_S8_S8_S8_EEEEZNS1_11reduce_implILb1ES3_NS6_11hip_rocprim26transform_input_iterator_tIS9_NS6_12zip_iteratorINS7_INS6_17counting_iteratorIiNS6_11use_defaultESG_SG_EENS6_6detail15normal_iteratorINS6_10device_ptrIfEEEES8_S8_S8_S8_S8_S8_S8_S8_EEEE15transform_tupleIifEEEPS9_S9_12reduce_tupleIifEEE10hipError_tPvRmT1_T2_T3_mT4_P12ihipStream_tbEUlT_E0_NS1_11comp_targetILNS1_3genE3ELNS1_11target_archE908ELNS1_3gpuE7ELNS1_3repE0EEENS1_30default_config_static_selectorELNS0_4arch9wavefront6targetE0EEEvSY_,"axG",@progbits,_ZN7rocprim17ROCPRIM_400000_NS6detail17trampoline_kernelINS0_14default_configENS1_22reduce_config_selectorIN6thrust23THRUST_200600_302600_NS5tupleIbffNS6_9null_typeES8_S8_S8_S8_S8_S8_EEEEZNS1_11reduce_implILb1ES3_NS6_11hip_rocprim26transform_input_iterator_tIS9_NS6_12zip_iteratorINS7_INS6_17counting_iteratorIiNS6_11use_defaultESG_SG_EENS6_6detail15normal_iteratorINS6_10device_ptrIfEEEES8_S8_S8_S8_S8_S8_S8_S8_EEEE15transform_tupleIifEEEPS9_S9_12reduce_tupleIifEEE10hipError_tPvRmT1_T2_T3_mT4_P12ihipStream_tbEUlT_E0_NS1_11comp_targetILNS1_3genE3ELNS1_11target_archE908ELNS1_3gpuE7ELNS1_3repE0EEENS1_30default_config_static_selectorELNS0_4arch9wavefront6targetE0EEEvSY_,comdat
.Lfunc_end22:
	.size	_ZN7rocprim17ROCPRIM_400000_NS6detail17trampoline_kernelINS0_14default_configENS1_22reduce_config_selectorIN6thrust23THRUST_200600_302600_NS5tupleIbffNS6_9null_typeES8_S8_S8_S8_S8_S8_EEEEZNS1_11reduce_implILb1ES3_NS6_11hip_rocprim26transform_input_iterator_tIS9_NS6_12zip_iteratorINS7_INS6_17counting_iteratorIiNS6_11use_defaultESG_SG_EENS6_6detail15normal_iteratorINS6_10device_ptrIfEEEES8_S8_S8_S8_S8_S8_S8_S8_EEEE15transform_tupleIifEEEPS9_S9_12reduce_tupleIifEEE10hipError_tPvRmT1_T2_T3_mT4_P12ihipStream_tbEUlT_E0_NS1_11comp_targetILNS1_3genE3ELNS1_11target_archE908ELNS1_3gpuE7ELNS1_3repE0EEENS1_30default_config_static_selectorELNS0_4arch9wavefront6targetE0EEEvSY_, .Lfunc_end22-_ZN7rocprim17ROCPRIM_400000_NS6detail17trampoline_kernelINS0_14default_configENS1_22reduce_config_selectorIN6thrust23THRUST_200600_302600_NS5tupleIbffNS6_9null_typeES8_S8_S8_S8_S8_S8_EEEEZNS1_11reduce_implILb1ES3_NS6_11hip_rocprim26transform_input_iterator_tIS9_NS6_12zip_iteratorINS7_INS6_17counting_iteratorIiNS6_11use_defaultESG_SG_EENS6_6detail15normal_iteratorINS6_10device_ptrIfEEEES8_S8_S8_S8_S8_S8_S8_S8_EEEE15transform_tupleIifEEEPS9_S9_12reduce_tupleIifEEE10hipError_tPvRmT1_T2_T3_mT4_P12ihipStream_tbEUlT_E0_NS1_11comp_targetILNS1_3genE3ELNS1_11target_archE908ELNS1_3gpuE7ELNS1_3repE0EEENS1_30default_config_static_selectorELNS0_4arch9wavefront6targetE0EEEvSY_
                                        ; -- End function
	.section	.AMDGPU.csdata,"",@progbits
; Kernel info:
; codeLenInByte = 0
; NumSgprs: 0
; NumVgprs: 0
; ScratchSize: 0
; MemoryBound: 0
; FloatMode: 240
; IeeeMode: 1
; LDSByteSize: 0 bytes/workgroup (compile time only)
; SGPRBlocks: 0
; VGPRBlocks: 0
; NumSGPRsForWavesPerEU: 1
; NumVGPRsForWavesPerEU: 1
; Occupancy: 16
; WaveLimiterHint : 0
; COMPUTE_PGM_RSRC2:SCRATCH_EN: 0
; COMPUTE_PGM_RSRC2:USER_SGPR: 15
; COMPUTE_PGM_RSRC2:TRAP_HANDLER: 0
; COMPUTE_PGM_RSRC2:TGID_X_EN: 1
; COMPUTE_PGM_RSRC2:TGID_Y_EN: 0
; COMPUTE_PGM_RSRC2:TGID_Z_EN: 0
; COMPUTE_PGM_RSRC2:TIDIG_COMP_CNT: 0
	.section	.text._ZN7rocprim17ROCPRIM_400000_NS6detail17trampoline_kernelINS0_14default_configENS1_22reduce_config_selectorIN6thrust23THRUST_200600_302600_NS5tupleIbffNS6_9null_typeES8_S8_S8_S8_S8_S8_EEEEZNS1_11reduce_implILb1ES3_NS6_11hip_rocprim26transform_input_iterator_tIS9_NS6_12zip_iteratorINS7_INS6_17counting_iteratorIiNS6_11use_defaultESG_SG_EENS6_6detail15normal_iteratorINS6_10device_ptrIfEEEES8_S8_S8_S8_S8_S8_S8_S8_EEEE15transform_tupleIifEEEPS9_S9_12reduce_tupleIifEEE10hipError_tPvRmT1_T2_T3_mT4_P12ihipStream_tbEUlT_E0_NS1_11comp_targetILNS1_3genE2ELNS1_11target_archE906ELNS1_3gpuE6ELNS1_3repE0EEENS1_30default_config_static_selectorELNS0_4arch9wavefront6targetE0EEEvSY_,"axG",@progbits,_ZN7rocprim17ROCPRIM_400000_NS6detail17trampoline_kernelINS0_14default_configENS1_22reduce_config_selectorIN6thrust23THRUST_200600_302600_NS5tupleIbffNS6_9null_typeES8_S8_S8_S8_S8_S8_EEEEZNS1_11reduce_implILb1ES3_NS6_11hip_rocprim26transform_input_iterator_tIS9_NS6_12zip_iteratorINS7_INS6_17counting_iteratorIiNS6_11use_defaultESG_SG_EENS6_6detail15normal_iteratorINS6_10device_ptrIfEEEES8_S8_S8_S8_S8_S8_S8_S8_EEEE15transform_tupleIifEEEPS9_S9_12reduce_tupleIifEEE10hipError_tPvRmT1_T2_T3_mT4_P12ihipStream_tbEUlT_E0_NS1_11comp_targetILNS1_3genE2ELNS1_11target_archE906ELNS1_3gpuE6ELNS1_3repE0EEENS1_30default_config_static_selectorELNS0_4arch9wavefront6targetE0EEEvSY_,comdat
	.protected	_ZN7rocprim17ROCPRIM_400000_NS6detail17trampoline_kernelINS0_14default_configENS1_22reduce_config_selectorIN6thrust23THRUST_200600_302600_NS5tupleIbffNS6_9null_typeES8_S8_S8_S8_S8_S8_EEEEZNS1_11reduce_implILb1ES3_NS6_11hip_rocprim26transform_input_iterator_tIS9_NS6_12zip_iteratorINS7_INS6_17counting_iteratorIiNS6_11use_defaultESG_SG_EENS6_6detail15normal_iteratorINS6_10device_ptrIfEEEES8_S8_S8_S8_S8_S8_S8_S8_EEEE15transform_tupleIifEEEPS9_S9_12reduce_tupleIifEEE10hipError_tPvRmT1_T2_T3_mT4_P12ihipStream_tbEUlT_E0_NS1_11comp_targetILNS1_3genE2ELNS1_11target_archE906ELNS1_3gpuE6ELNS1_3repE0EEENS1_30default_config_static_selectorELNS0_4arch9wavefront6targetE0EEEvSY_ ; -- Begin function _ZN7rocprim17ROCPRIM_400000_NS6detail17trampoline_kernelINS0_14default_configENS1_22reduce_config_selectorIN6thrust23THRUST_200600_302600_NS5tupleIbffNS6_9null_typeES8_S8_S8_S8_S8_S8_EEEEZNS1_11reduce_implILb1ES3_NS6_11hip_rocprim26transform_input_iterator_tIS9_NS6_12zip_iteratorINS7_INS6_17counting_iteratorIiNS6_11use_defaultESG_SG_EENS6_6detail15normal_iteratorINS6_10device_ptrIfEEEES8_S8_S8_S8_S8_S8_S8_S8_EEEE15transform_tupleIifEEEPS9_S9_12reduce_tupleIifEEE10hipError_tPvRmT1_T2_T3_mT4_P12ihipStream_tbEUlT_E0_NS1_11comp_targetILNS1_3genE2ELNS1_11target_archE906ELNS1_3gpuE6ELNS1_3repE0EEENS1_30default_config_static_selectorELNS0_4arch9wavefront6targetE0EEEvSY_
	.globl	_ZN7rocprim17ROCPRIM_400000_NS6detail17trampoline_kernelINS0_14default_configENS1_22reduce_config_selectorIN6thrust23THRUST_200600_302600_NS5tupleIbffNS6_9null_typeES8_S8_S8_S8_S8_S8_EEEEZNS1_11reduce_implILb1ES3_NS6_11hip_rocprim26transform_input_iterator_tIS9_NS6_12zip_iteratorINS7_INS6_17counting_iteratorIiNS6_11use_defaultESG_SG_EENS6_6detail15normal_iteratorINS6_10device_ptrIfEEEES8_S8_S8_S8_S8_S8_S8_S8_EEEE15transform_tupleIifEEEPS9_S9_12reduce_tupleIifEEE10hipError_tPvRmT1_T2_T3_mT4_P12ihipStream_tbEUlT_E0_NS1_11comp_targetILNS1_3genE2ELNS1_11target_archE906ELNS1_3gpuE6ELNS1_3repE0EEENS1_30default_config_static_selectorELNS0_4arch9wavefront6targetE0EEEvSY_
	.p2align	8
	.type	_ZN7rocprim17ROCPRIM_400000_NS6detail17trampoline_kernelINS0_14default_configENS1_22reduce_config_selectorIN6thrust23THRUST_200600_302600_NS5tupleIbffNS6_9null_typeES8_S8_S8_S8_S8_S8_EEEEZNS1_11reduce_implILb1ES3_NS6_11hip_rocprim26transform_input_iterator_tIS9_NS6_12zip_iteratorINS7_INS6_17counting_iteratorIiNS6_11use_defaultESG_SG_EENS6_6detail15normal_iteratorINS6_10device_ptrIfEEEES8_S8_S8_S8_S8_S8_S8_S8_EEEE15transform_tupleIifEEEPS9_S9_12reduce_tupleIifEEE10hipError_tPvRmT1_T2_T3_mT4_P12ihipStream_tbEUlT_E0_NS1_11comp_targetILNS1_3genE2ELNS1_11target_archE906ELNS1_3gpuE6ELNS1_3repE0EEENS1_30default_config_static_selectorELNS0_4arch9wavefront6targetE0EEEvSY_,@function
_ZN7rocprim17ROCPRIM_400000_NS6detail17trampoline_kernelINS0_14default_configENS1_22reduce_config_selectorIN6thrust23THRUST_200600_302600_NS5tupleIbffNS6_9null_typeES8_S8_S8_S8_S8_S8_EEEEZNS1_11reduce_implILb1ES3_NS6_11hip_rocprim26transform_input_iterator_tIS9_NS6_12zip_iteratorINS7_INS6_17counting_iteratorIiNS6_11use_defaultESG_SG_EENS6_6detail15normal_iteratorINS6_10device_ptrIfEEEES8_S8_S8_S8_S8_S8_S8_S8_EEEE15transform_tupleIifEEEPS9_S9_12reduce_tupleIifEEE10hipError_tPvRmT1_T2_T3_mT4_P12ihipStream_tbEUlT_E0_NS1_11comp_targetILNS1_3genE2ELNS1_11target_archE906ELNS1_3gpuE6ELNS1_3repE0EEENS1_30default_config_static_selectorELNS0_4arch9wavefront6targetE0EEEvSY_: ; @_ZN7rocprim17ROCPRIM_400000_NS6detail17trampoline_kernelINS0_14default_configENS1_22reduce_config_selectorIN6thrust23THRUST_200600_302600_NS5tupleIbffNS6_9null_typeES8_S8_S8_S8_S8_S8_EEEEZNS1_11reduce_implILb1ES3_NS6_11hip_rocprim26transform_input_iterator_tIS9_NS6_12zip_iteratorINS7_INS6_17counting_iteratorIiNS6_11use_defaultESG_SG_EENS6_6detail15normal_iteratorINS6_10device_ptrIfEEEES8_S8_S8_S8_S8_S8_S8_S8_EEEE15transform_tupleIifEEEPS9_S9_12reduce_tupleIifEEE10hipError_tPvRmT1_T2_T3_mT4_P12ihipStream_tbEUlT_E0_NS1_11comp_targetILNS1_3genE2ELNS1_11target_archE906ELNS1_3gpuE6ELNS1_3repE0EEENS1_30default_config_static_selectorELNS0_4arch9wavefront6targetE0EEEvSY_
; %bb.0:
	.section	.rodata,"a",@progbits
	.p2align	6, 0x0
	.amdhsa_kernel _ZN7rocprim17ROCPRIM_400000_NS6detail17trampoline_kernelINS0_14default_configENS1_22reduce_config_selectorIN6thrust23THRUST_200600_302600_NS5tupleIbffNS6_9null_typeES8_S8_S8_S8_S8_S8_EEEEZNS1_11reduce_implILb1ES3_NS6_11hip_rocprim26transform_input_iterator_tIS9_NS6_12zip_iteratorINS7_INS6_17counting_iteratorIiNS6_11use_defaultESG_SG_EENS6_6detail15normal_iteratorINS6_10device_ptrIfEEEES8_S8_S8_S8_S8_S8_S8_S8_EEEE15transform_tupleIifEEEPS9_S9_12reduce_tupleIifEEE10hipError_tPvRmT1_T2_T3_mT4_P12ihipStream_tbEUlT_E0_NS1_11comp_targetILNS1_3genE2ELNS1_11target_archE906ELNS1_3gpuE6ELNS1_3repE0EEENS1_30default_config_static_selectorELNS0_4arch9wavefront6targetE0EEEvSY_
		.amdhsa_group_segment_fixed_size 0
		.amdhsa_private_segment_fixed_size 0
		.amdhsa_kernarg_size 80
		.amdhsa_user_sgpr_count 15
		.amdhsa_user_sgpr_dispatch_ptr 0
		.amdhsa_user_sgpr_queue_ptr 0
		.amdhsa_user_sgpr_kernarg_segment_ptr 1
		.amdhsa_user_sgpr_dispatch_id 0
		.amdhsa_user_sgpr_private_segment_size 0
		.amdhsa_wavefront_size32 1
		.amdhsa_uses_dynamic_stack 0
		.amdhsa_enable_private_segment 0
		.amdhsa_system_sgpr_workgroup_id_x 1
		.amdhsa_system_sgpr_workgroup_id_y 0
		.amdhsa_system_sgpr_workgroup_id_z 0
		.amdhsa_system_sgpr_workgroup_info 0
		.amdhsa_system_vgpr_workitem_id 0
		.amdhsa_next_free_vgpr 1
		.amdhsa_next_free_sgpr 1
		.amdhsa_reserve_vcc 0
		.amdhsa_float_round_mode_32 0
		.amdhsa_float_round_mode_16_64 0
		.amdhsa_float_denorm_mode_32 3
		.amdhsa_float_denorm_mode_16_64 3
		.amdhsa_dx10_clamp 1
		.amdhsa_ieee_mode 1
		.amdhsa_fp16_overflow 0
		.amdhsa_workgroup_processor_mode 1
		.amdhsa_memory_ordered 1
		.amdhsa_forward_progress 0
		.amdhsa_shared_vgpr_count 0
		.amdhsa_exception_fp_ieee_invalid_op 0
		.amdhsa_exception_fp_denorm_src 0
		.amdhsa_exception_fp_ieee_div_zero 0
		.amdhsa_exception_fp_ieee_overflow 0
		.amdhsa_exception_fp_ieee_underflow 0
		.amdhsa_exception_fp_ieee_inexact 0
		.amdhsa_exception_int_div_zero 0
	.end_amdhsa_kernel
	.section	.text._ZN7rocprim17ROCPRIM_400000_NS6detail17trampoline_kernelINS0_14default_configENS1_22reduce_config_selectorIN6thrust23THRUST_200600_302600_NS5tupleIbffNS6_9null_typeES8_S8_S8_S8_S8_S8_EEEEZNS1_11reduce_implILb1ES3_NS6_11hip_rocprim26transform_input_iterator_tIS9_NS6_12zip_iteratorINS7_INS6_17counting_iteratorIiNS6_11use_defaultESG_SG_EENS6_6detail15normal_iteratorINS6_10device_ptrIfEEEES8_S8_S8_S8_S8_S8_S8_S8_EEEE15transform_tupleIifEEEPS9_S9_12reduce_tupleIifEEE10hipError_tPvRmT1_T2_T3_mT4_P12ihipStream_tbEUlT_E0_NS1_11comp_targetILNS1_3genE2ELNS1_11target_archE906ELNS1_3gpuE6ELNS1_3repE0EEENS1_30default_config_static_selectorELNS0_4arch9wavefront6targetE0EEEvSY_,"axG",@progbits,_ZN7rocprim17ROCPRIM_400000_NS6detail17trampoline_kernelINS0_14default_configENS1_22reduce_config_selectorIN6thrust23THRUST_200600_302600_NS5tupleIbffNS6_9null_typeES8_S8_S8_S8_S8_S8_EEEEZNS1_11reduce_implILb1ES3_NS6_11hip_rocprim26transform_input_iterator_tIS9_NS6_12zip_iteratorINS7_INS6_17counting_iteratorIiNS6_11use_defaultESG_SG_EENS6_6detail15normal_iteratorINS6_10device_ptrIfEEEES8_S8_S8_S8_S8_S8_S8_S8_EEEE15transform_tupleIifEEEPS9_S9_12reduce_tupleIifEEE10hipError_tPvRmT1_T2_T3_mT4_P12ihipStream_tbEUlT_E0_NS1_11comp_targetILNS1_3genE2ELNS1_11target_archE906ELNS1_3gpuE6ELNS1_3repE0EEENS1_30default_config_static_selectorELNS0_4arch9wavefront6targetE0EEEvSY_,comdat
.Lfunc_end23:
	.size	_ZN7rocprim17ROCPRIM_400000_NS6detail17trampoline_kernelINS0_14default_configENS1_22reduce_config_selectorIN6thrust23THRUST_200600_302600_NS5tupleIbffNS6_9null_typeES8_S8_S8_S8_S8_S8_EEEEZNS1_11reduce_implILb1ES3_NS6_11hip_rocprim26transform_input_iterator_tIS9_NS6_12zip_iteratorINS7_INS6_17counting_iteratorIiNS6_11use_defaultESG_SG_EENS6_6detail15normal_iteratorINS6_10device_ptrIfEEEES8_S8_S8_S8_S8_S8_S8_S8_EEEE15transform_tupleIifEEEPS9_S9_12reduce_tupleIifEEE10hipError_tPvRmT1_T2_T3_mT4_P12ihipStream_tbEUlT_E0_NS1_11comp_targetILNS1_3genE2ELNS1_11target_archE906ELNS1_3gpuE6ELNS1_3repE0EEENS1_30default_config_static_selectorELNS0_4arch9wavefront6targetE0EEEvSY_, .Lfunc_end23-_ZN7rocprim17ROCPRIM_400000_NS6detail17trampoline_kernelINS0_14default_configENS1_22reduce_config_selectorIN6thrust23THRUST_200600_302600_NS5tupleIbffNS6_9null_typeES8_S8_S8_S8_S8_S8_EEEEZNS1_11reduce_implILb1ES3_NS6_11hip_rocprim26transform_input_iterator_tIS9_NS6_12zip_iteratorINS7_INS6_17counting_iteratorIiNS6_11use_defaultESG_SG_EENS6_6detail15normal_iteratorINS6_10device_ptrIfEEEES8_S8_S8_S8_S8_S8_S8_S8_EEEE15transform_tupleIifEEEPS9_S9_12reduce_tupleIifEEE10hipError_tPvRmT1_T2_T3_mT4_P12ihipStream_tbEUlT_E0_NS1_11comp_targetILNS1_3genE2ELNS1_11target_archE906ELNS1_3gpuE6ELNS1_3repE0EEENS1_30default_config_static_selectorELNS0_4arch9wavefront6targetE0EEEvSY_
                                        ; -- End function
	.section	.AMDGPU.csdata,"",@progbits
; Kernel info:
; codeLenInByte = 0
; NumSgprs: 0
; NumVgprs: 0
; ScratchSize: 0
; MemoryBound: 0
; FloatMode: 240
; IeeeMode: 1
; LDSByteSize: 0 bytes/workgroup (compile time only)
; SGPRBlocks: 0
; VGPRBlocks: 0
; NumSGPRsForWavesPerEU: 1
; NumVGPRsForWavesPerEU: 1
; Occupancy: 16
; WaveLimiterHint : 0
; COMPUTE_PGM_RSRC2:SCRATCH_EN: 0
; COMPUTE_PGM_RSRC2:USER_SGPR: 15
; COMPUTE_PGM_RSRC2:TRAP_HANDLER: 0
; COMPUTE_PGM_RSRC2:TGID_X_EN: 1
; COMPUTE_PGM_RSRC2:TGID_Y_EN: 0
; COMPUTE_PGM_RSRC2:TGID_Z_EN: 0
; COMPUTE_PGM_RSRC2:TIDIG_COMP_CNT: 0
	.section	.text._ZN7rocprim17ROCPRIM_400000_NS6detail17trampoline_kernelINS0_14default_configENS1_22reduce_config_selectorIN6thrust23THRUST_200600_302600_NS5tupleIbffNS6_9null_typeES8_S8_S8_S8_S8_S8_EEEEZNS1_11reduce_implILb1ES3_NS6_11hip_rocprim26transform_input_iterator_tIS9_NS6_12zip_iteratorINS7_INS6_17counting_iteratorIiNS6_11use_defaultESG_SG_EENS6_6detail15normal_iteratorINS6_10device_ptrIfEEEES8_S8_S8_S8_S8_S8_S8_S8_EEEE15transform_tupleIifEEEPS9_S9_12reduce_tupleIifEEE10hipError_tPvRmT1_T2_T3_mT4_P12ihipStream_tbEUlT_E0_NS1_11comp_targetILNS1_3genE10ELNS1_11target_archE1201ELNS1_3gpuE5ELNS1_3repE0EEENS1_30default_config_static_selectorELNS0_4arch9wavefront6targetE0EEEvSY_,"axG",@progbits,_ZN7rocprim17ROCPRIM_400000_NS6detail17trampoline_kernelINS0_14default_configENS1_22reduce_config_selectorIN6thrust23THRUST_200600_302600_NS5tupleIbffNS6_9null_typeES8_S8_S8_S8_S8_S8_EEEEZNS1_11reduce_implILb1ES3_NS6_11hip_rocprim26transform_input_iterator_tIS9_NS6_12zip_iteratorINS7_INS6_17counting_iteratorIiNS6_11use_defaultESG_SG_EENS6_6detail15normal_iteratorINS6_10device_ptrIfEEEES8_S8_S8_S8_S8_S8_S8_S8_EEEE15transform_tupleIifEEEPS9_S9_12reduce_tupleIifEEE10hipError_tPvRmT1_T2_T3_mT4_P12ihipStream_tbEUlT_E0_NS1_11comp_targetILNS1_3genE10ELNS1_11target_archE1201ELNS1_3gpuE5ELNS1_3repE0EEENS1_30default_config_static_selectorELNS0_4arch9wavefront6targetE0EEEvSY_,comdat
	.protected	_ZN7rocprim17ROCPRIM_400000_NS6detail17trampoline_kernelINS0_14default_configENS1_22reduce_config_selectorIN6thrust23THRUST_200600_302600_NS5tupleIbffNS6_9null_typeES8_S8_S8_S8_S8_S8_EEEEZNS1_11reduce_implILb1ES3_NS6_11hip_rocprim26transform_input_iterator_tIS9_NS6_12zip_iteratorINS7_INS6_17counting_iteratorIiNS6_11use_defaultESG_SG_EENS6_6detail15normal_iteratorINS6_10device_ptrIfEEEES8_S8_S8_S8_S8_S8_S8_S8_EEEE15transform_tupleIifEEEPS9_S9_12reduce_tupleIifEEE10hipError_tPvRmT1_T2_T3_mT4_P12ihipStream_tbEUlT_E0_NS1_11comp_targetILNS1_3genE10ELNS1_11target_archE1201ELNS1_3gpuE5ELNS1_3repE0EEENS1_30default_config_static_selectorELNS0_4arch9wavefront6targetE0EEEvSY_ ; -- Begin function _ZN7rocprim17ROCPRIM_400000_NS6detail17trampoline_kernelINS0_14default_configENS1_22reduce_config_selectorIN6thrust23THRUST_200600_302600_NS5tupleIbffNS6_9null_typeES8_S8_S8_S8_S8_S8_EEEEZNS1_11reduce_implILb1ES3_NS6_11hip_rocprim26transform_input_iterator_tIS9_NS6_12zip_iteratorINS7_INS6_17counting_iteratorIiNS6_11use_defaultESG_SG_EENS6_6detail15normal_iteratorINS6_10device_ptrIfEEEES8_S8_S8_S8_S8_S8_S8_S8_EEEE15transform_tupleIifEEEPS9_S9_12reduce_tupleIifEEE10hipError_tPvRmT1_T2_T3_mT4_P12ihipStream_tbEUlT_E0_NS1_11comp_targetILNS1_3genE10ELNS1_11target_archE1201ELNS1_3gpuE5ELNS1_3repE0EEENS1_30default_config_static_selectorELNS0_4arch9wavefront6targetE0EEEvSY_
	.globl	_ZN7rocprim17ROCPRIM_400000_NS6detail17trampoline_kernelINS0_14default_configENS1_22reduce_config_selectorIN6thrust23THRUST_200600_302600_NS5tupleIbffNS6_9null_typeES8_S8_S8_S8_S8_S8_EEEEZNS1_11reduce_implILb1ES3_NS6_11hip_rocprim26transform_input_iterator_tIS9_NS6_12zip_iteratorINS7_INS6_17counting_iteratorIiNS6_11use_defaultESG_SG_EENS6_6detail15normal_iteratorINS6_10device_ptrIfEEEES8_S8_S8_S8_S8_S8_S8_S8_EEEE15transform_tupleIifEEEPS9_S9_12reduce_tupleIifEEE10hipError_tPvRmT1_T2_T3_mT4_P12ihipStream_tbEUlT_E0_NS1_11comp_targetILNS1_3genE10ELNS1_11target_archE1201ELNS1_3gpuE5ELNS1_3repE0EEENS1_30default_config_static_selectorELNS0_4arch9wavefront6targetE0EEEvSY_
	.p2align	8
	.type	_ZN7rocprim17ROCPRIM_400000_NS6detail17trampoline_kernelINS0_14default_configENS1_22reduce_config_selectorIN6thrust23THRUST_200600_302600_NS5tupleIbffNS6_9null_typeES8_S8_S8_S8_S8_S8_EEEEZNS1_11reduce_implILb1ES3_NS6_11hip_rocprim26transform_input_iterator_tIS9_NS6_12zip_iteratorINS7_INS6_17counting_iteratorIiNS6_11use_defaultESG_SG_EENS6_6detail15normal_iteratorINS6_10device_ptrIfEEEES8_S8_S8_S8_S8_S8_S8_S8_EEEE15transform_tupleIifEEEPS9_S9_12reduce_tupleIifEEE10hipError_tPvRmT1_T2_T3_mT4_P12ihipStream_tbEUlT_E0_NS1_11comp_targetILNS1_3genE10ELNS1_11target_archE1201ELNS1_3gpuE5ELNS1_3repE0EEENS1_30default_config_static_selectorELNS0_4arch9wavefront6targetE0EEEvSY_,@function
_ZN7rocprim17ROCPRIM_400000_NS6detail17trampoline_kernelINS0_14default_configENS1_22reduce_config_selectorIN6thrust23THRUST_200600_302600_NS5tupleIbffNS6_9null_typeES8_S8_S8_S8_S8_S8_EEEEZNS1_11reduce_implILb1ES3_NS6_11hip_rocprim26transform_input_iterator_tIS9_NS6_12zip_iteratorINS7_INS6_17counting_iteratorIiNS6_11use_defaultESG_SG_EENS6_6detail15normal_iteratorINS6_10device_ptrIfEEEES8_S8_S8_S8_S8_S8_S8_S8_EEEE15transform_tupleIifEEEPS9_S9_12reduce_tupleIifEEE10hipError_tPvRmT1_T2_T3_mT4_P12ihipStream_tbEUlT_E0_NS1_11comp_targetILNS1_3genE10ELNS1_11target_archE1201ELNS1_3gpuE5ELNS1_3repE0EEENS1_30default_config_static_selectorELNS0_4arch9wavefront6targetE0EEEvSY_: ; @_ZN7rocprim17ROCPRIM_400000_NS6detail17trampoline_kernelINS0_14default_configENS1_22reduce_config_selectorIN6thrust23THRUST_200600_302600_NS5tupleIbffNS6_9null_typeES8_S8_S8_S8_S8_S8_EEEEZNS1_11reduce_implILb1ES3_NS6_11hip_rocprim26transform_input_iterator_tIS9_NS6_12zip_iteratorINS7_INS6_17counting_iteratorIiNS6_11use_defaultESG_SG_EENS6_6detail15normal_iteratorINS6_10device_ptrIfEEEES8_S8_S8_S8_S8_S8_S8_S8_EEEE15transform_tupleIifEEEPS9_S9_12reduce_tupleIifEEE10hipError_tPvRmT1_T2_T3_mT4_P12ihipStream_tbEUlT_E0_NS1_11comp_targetILNS1_3genE10ELNS1_11target_archE1201ELNS1_3gpuE5ELNS1_3repE0EEENS1_30default_config_static_selectorELNS0_4arch9wavefront6targetE0EEEvSY_
; %bb.0:
	.section	.rodata,"a",@progbits
	.p2align	6, 0x0
	.amdhsa_kernel _ZN7rocprim17ROCPRIM_400000_NS6detail17trampoline_kernelINS0_14default_configENS1_22reduce_config_selectorIN6thrust23THRUST_200600_302600_NS5tupleIbffNS6_9null_typeES8_S8_S8_S8_S8_S8_EEEEZNS1_11reduce_implILb1ES3_NS6_11hip_rocprim26transform_input_iterator_tIS9_NS6_12zip_iteratorINS7_INS6_17counting_iteratorIiNS6_11use_defaultESG_SG_EENS6_6detail15normal_iteratorINS6_10device_ptrIfEEEES8_S8_S8_S8_S8_S8_S8_S8_EEEE15transform_tupleIifEEEPS9_S9_12reduce_tupleIifEEE10hipError_tPvRmT1_T2_T3_mT4_P12ihipStream_tbEUlT_E0_NS1_11comp_targetILNS1_3genE10ELNS1_11target_archE1201ELNS1_3gpuE5ELNS1_3repE0EEENS1_30default_config_static_selectorELNS0_4arch9wavefront6targetE0EEEvSY_
		.amdhsa_group_segment_fixed_size 0
		.amdhsa_private_segment_fixed_size 0
		.amdhsa_kernarg_size 80
		.amdhsa_user_sgpr_count 15
		.amdhsa_user_sgpr_dispatch_ptr 0
		.amdhsa_user_sgpr_queue_ptr 0
		.amdhsa_user_sgpr_kernarg_segment_ptr 1
		.amdhsa_user_sgpr_dispatch_id 0
		.amdhsa_user_sgpr_private_segment_size 0
		.amdhsa_wavefront_size32 1
		.amdhsa_uses_dynamic_stack 0
		.amdhsa_enable_private_segment 0
		.amdhsa_system_sgpr_workgroup_id_x 1
		.amdhsa_system_sgpr_workgroup_id_y 0
		.amdhsa_system_sgpr_workgroup_id_z 0
		.amdhsa_system_sgpr_workgroup_info 0
		.amdhsa_system_vgpr_workitem_id 0
		.amdhsa_next_free_vgpr 1
		.amdhsa_next_free_sgpr 1
		.amdhsa_reserve_vcc 0
		.amdhsa_float_round_mode_32 0
		.amdhsa_float_round_mode_16_64 0
		.amdhsa_float_denorm_mode_32 3
		.amdhsa_float_denorm_mode_16_64 3
		.amdhsa_dx10_clamp 1
		.amdhsa_ieee_mode 1
		.amdhsa_fp16_overflow 0
		.amdhsa_workgroup_processor_mode 1
		.amdhsa_memory_ordered 1
		.amdhsa_forward_progress 0
		.amdhsa_shared_vgpr_count 0
		.amdhsa_exception_fp_ieee_invalid_op 0
		.amdhsa_exception_fp_denorm_src 0
		.amdhsa_exception_fp_ieee_div_zero 0
		.amdhsa_exception_fp_ieee_overflow 0
		.amdhsa_exception_fp_ieee_underflow 0
		.amdhsa_exception_fp_ieee_inexact 0
		.amdhsa_exception_int_div_zero 0
	.end_amdhsa_kernel
	.section	.text._ZN7rocprim17ROCPRIM_400000_NS6detail17trampoline_kernelINS0_14default_configENS1_22reduce_config_selectorIN6thrust23THRUST_200600_302600_NS5tupleIbffNS6_9null_typeES8_S8_S8_S8_S8_S8_EEEEZNS1_11reduce_implILb1ES3_NS6_11hip_rocprim26transform_input_iterator_tIS9_NS6_12zip_iteratorINS7_INS6_17counting_iteratorIiNS6_11use_defaultESG_SG_EENS6_6detail15normal_iteratorINS6_10device_ptrIfEEEES8_S8_S8_S8_S8_S8_S8_S8_EEEE15transform_tupleIifEEEPS9_S9_12reduce_tupleIifEEE10hipError_tPvRmT1_T2_T3_mT4_P12ihipStream_tbEUlT_E0_NS1_11comp_targetILNS1_3genE10ELNS1_11target_archE1201ELNS1_3gpuE5ELNS1_3repE0EEENS1_30default_config_static_selectorELNS0_4arch9wavefront6targetE0EEEvSY_,"axG",@progbits,_ZN7rocprim17ROCPRIM_400000_NS6detail17trampoline_kernelINS0_14default_configENS1_22reduce_config_selectorIN6thrust23THRUST_200600_302600_NS5tupleIbffNS6_9null_typeES8_S8_S8_S8_S8_S8_EEEEZNS1_11reduce_implILb1ES3_NS6_11hip_rocprim26transform_input_iterator_tIS9_NS6_12zip_iteratorINS7_INS6_17counting_iteratorIiNS6_11use_defaultESG_SG_EENS6_6detail15normal_iteratorINS6_10device_ptrIfEEEES8_S8_S8_S8_S8_S8_S8_S8_EEEE15transform_tupleIifEEEPS9_S9_12reduce_tupleIifEEE10hipError_tPvRmT1_T2_T3_mT4_P12ihipStream_tbEUlT_E0_NS1_11comp_targetILNS1_3genE10ELNS1_11target_archE1201ELNS1_3gpuE5ELNS1_3repE0EEENS1_30default_config_static_selectorELNS0_4arch9wavefront6targetE0EEEvSY_,comdat
.Lfunc_end24:
	.size	_ZN7rocprim17ROCPRIM_400000_NS6detail17trampoline_kernelINS0_14default_configENS1_22reduce_config_selectorIN6thrust23THRUST_200600_302600_NS5tupleIbffNS6_9null_typeES8_S8_S8_S8_S8_S8_EEEEZNS1_11reduce_implILb1ES3_NS6_11hip_rocprim26transform_input_iterator_tIS9_NS6_12zip_iteratorINS7_INS6_17counting_iteratorIiNS6_11use_defaultESG_SG_EENS6_6detail15normal_iteratorINS6_10device_ptrIfEEEES8_S8_S8_S8_S8_S8_S8_S8_EEEE15transform_tupleIifEEEPS9_S9_12reduce_tupleIifEEE10hipError_tPvRmT1_T2_T3_mT4_P12ihipStream_tbEUlT_E0_NS1_11comp_targetILNS1_3genE10ELNS1_11target_archE1201ELNS1_3gpuE5ELNS1_3repE0EEENS1_30default_config_static_selectorELNS0_4arch9wavefront6targetE0EEEvSY_, .Lfunc_end24-_ZN7rocprim17ROCPRIM_400000_NS6detail17trampoline_kernelINS0_14default_configENS1_22reduce_config_selectorIN6thrust23THRUST_200600_302600_NS5tupleIbffNS6_9null_typeES8_S8_S8_S8_S8_S8_EEEEZNS1_11reduce_implILb1ES3_NS6_11hip_rocprim26transform_input_iterator_tIS9_NS6_12zip_iteratorINS7_INS6_17counting_iteratorIiNS6_11use_defaultESG_SG_EENS6_6detail15normal_iteratorINS6_10device_ptrIfEEEES8_S8_S8_S8_S8_S8_S8_S8_EEEE15transform_tupleIifEEEPS9_S9_12reduce_tupleIifEEE10hipError_tPvRmT1_T2_T3_mT4_P12ihipStream_tbEUlT_E0_NS1_11comp_targetILNS1_3genE10ELNS1_11target_archE1201ELNS1_3gpuE5ELNS1_3repE0EEENS1_30default_config_static_selectorELNS0_4arch9wavefront6targetE0EEEvSY_
                                        ; -- End function
	.section	.AMDGPU.csdata,"",@progbits
; Kernel info:
; codeLenInByte = 0
; NumSgprs: 0
; NumVgprs: 0
; ScratchSize: 0
; MemoryBound: 0
; FloatMode: 240
; IeeeMode: 1
; LDSByteSize: 0 bytes/workgroup (compile time only)
; SGPRBlocks: 0
; VGPRBlocks: 0
; NumSGPRsForWavesPerEU: 1
; NumVGPRsForWavesPerEU: 1
; Occupancy: 16
; WaveLimiterHint : 0
; COMPUTE_PGM_RSRC2:SCRATCH_EN: 0
; COMPUTE_PGM_RSRC2:USER_SGPR: 15
; COMPUTE_PGM_RSRC2:TRAP_HANDLER: 0
; COMPUTE_PGM_RSRC2:TGID_X_EN: 1
; COMPUTE_PGM_RSRC2:TGID_Y_EN: 0
; COMPUTE_PGM_RSRC2:TGID_Z_EN: 0
; COMPUTE_PGM_RSRC2:TIDIG_COMP_CNT: 0
	.section	.text._ZN7rocprim17ROCPRIM_400000_NS6detail17trampoline_kernelINS0_14default_configENS1_22reduce_config_selectorIN6thrust23THRUST_200600_302600_NS5tupleIbffNS6_9null_typeES8_S8_S8_S8_S8_S8_EEEEZNS1_11reduce_implILb1ES3_NS6_11hip_rocprim26transform_input_iterator_tIS9_NS6_12zip_iteratorINS7_INS6_17counting_iteratorIiNS6_11use_defaultESG_SG_EENS6_6detail15normal_iteratorINS6_10device_ptrIfEEEES8_S8_S8_S8_S8_S8_S8_S8_EEEE15transform_tupleIifEEEPS9_S9_12reduce_tupleIifEEE10hipError_tPvRmT1_T2_T3_mT4_P12ihipStream_tbEUlT_E0_NS1_11comp_targetILNS1_3genE10ELNS1_11target_archE1200ELNS1_3gpuE4ELNS1_3repE0EEENS1_30default_config_static_selectorELNS0_4arch9wavefront6targetE0EEEvSY_,"axG",@progbits,_ZN7rocprim17ROCPRIM_400000_NS6detail17trampoline_kernelINS0_14default_configENS1_22reduce_config_selectorIN6thrust23THRUST_200600_302600_NS5tupleIbffNS6_9null_typeES8_S8_S8_S8_S8_S8_EEEEZNS1_11reduce_implILb1ES3_NS6_11hip_rocprim26transform_input_iterator_tIS9_NS6_12zip_iteratorINS7_INS6_17counting_iteratorIiNS6_11use_defaultESG_SG_EENS6_6detail15normal_iteratorINS6_10device_ptrIfEEEES8_S8_S8_S8_S8_S8_S8_S8_EEEE15transform_tupleIifEEEPS9_S9_12reduce_tupleIifEEE10hipError_tPvRmT1_T2_T3_mT4_P12ihipStream_tbEUlT_E0_NS1_11comp_targetILNS1_3genE10ELNS1_11target_archE1200ELNS1_3gpuE4ELNS1_3repE0EEENS1_30default_config_static_selectorELNS0_4arch9wavefront6targetE0EEEvSY_,comdat
	.protected	_ZN7rocprim17ROCPRIM_400000_NS6detail17trampoline_kernelINS0_14default_configENS1_22reduce_config_selectorIN6thrust23THRUST_200600_302600_NS5tupleIbffNS6_9null_typeES8_S8_S8_S8_S8_S8_EEEEZNS1_11reduce_implILb1ES3_NS6_11hip_rocprim26transform_input_iterator_tIS9_NS6_12zip_iteratorINS7_INS6_17counting_iteratorIiNS6_11use_defaultESG_SG_EENS6_6detail15normal_iteratorINS6_10device_ptrIfEEEES8_S8_S8_S8_S8_S8_S8_S8_EEEE15transform_tupleIifEEEPS9_S9_12reduce_tupleIifEEE10hipError_tPvRmT1_T2_T3_mT4_P12ihipStream_tbEUlT_E0_NS1_11comp_targetILNS1_3genE10ELNS1_11target_archE1200ELNS1_3gpuE4ELNS1_3repE0EEENS1_30default_config_static_selectorELNS0_4arch9wavefront6targetE0EEEvSY_ ; -- Begin function _ZN7rocprim17ROCPRIM_400000_NS6detail17trampoline_kernelINS0_14default_configENS1_22reduce_config_selectorIN6thrust23THRUST_200600_302600_NS5tupleIbffNS6_9null_typeES8_S8_S8_S8_S8_S8_EEEEZNS1_11reduce_implILb1ES3_NS6_11hip_rocprim26transform_input_iterator_tIS9_NS6_12zip_iteratorINS7_INS6_17counting_iteratorIiNS6_11use_defaultESG_SG_EENS6_6detail15normal_iteratorINS6_10device_ptrIfEEEES8_S8_S8_S8_S8_S8_S8_S8_EEEE15transform_tupleIifEEEPS9_S9_12reduce_tupleIifEEE10hipError_tPvRmT1_T2_T3_mT4_P12ihipStream_tbEUlT_E0_NS1_11comp_targetILNS1_3genE10ELNS1_11target_archE1200ELNS1_3gpuE4ELNS1_3repE0EEENS1_30default_config_static_selectorELNS0_4arch9wavefront6targetE0EEEvSY_
	.globl	_ZN7rocprim17ROCPRIM_400000_NS6detail17trampoline_kernelINS0_14default_configENS1_22reduce_config_selectorIN6thrust23THRUST_200600_302600_NS5tupleIbffNS6_9null_typeES8_S8_S8_S8_S8_S8_EEEEZNS1_11reduce_implILb1ES3_NS6_11hip_rocprim26transform_input_iterator_tIS9_NS6_12zip_iteratorINS7_INS6_17counting_iteratorIiNS6_11use_defaultESG_SG_EENS6_6detail15normal_iteratorINS6_10device_ptrIfEEEES8_S8_S8_S8_S8_S8_S8_S8_EEEE15transform_tupleIifEEEPS9_S9_12reduce_tupleIifEEE10hipError_tPvRmT1_T2_T3_mT4_P12ihipStream_tbEUlT_E0_NS1_11comp_targetILNS1_3genE10ELNS1_11target_archE1200ELNS1_3gpuE4ELNS1_3repE0EEENS1_30default_config_static_selectorELNS0_4arch9wavefront6targetE0EEEvSY_
	.p2align	8
	.type	_ZN7rocprim17ROCPRIM_400000_NS6detail17trampoline_kernelINS0_14default_configENS1_22reduce_config_selectorIN6thrust23THRUST_200600_302600_NS5tupleIbffNS6_9null_typeES8_S8_S8_S8_S8_S8_EEEEZNS1_11reduce_implILb1ES3_NS6_11hip_rocprim26transform_input_iterator_tIS9_NS6_12zip_iteratorINS7_INS6_17counting_iteratorIiNS6_11use_defaultESG_SG_EENS6_6detail15normal_iteratorINS6_10device_ptrIfEEEES8_S8_S8_S8_S8_S8_S8_S8_EEEE15transform_tupleIifEEEPS9_S9_12reduce_tupleIifEEE10hipError_tPvRmT1_T2_T3_mT4_P12ihipStream_tbEUlT_E0_NS1_11comp_targetILNS1_3genE10ELNS1_11target_archE1200ELNS1_3gpuE4ELNS1_3repE0EEENS1_30default_config_static_selectorELNS0_4arch9wavefront6targetE0EEEvSY_,@function
_ZN7rocprim17ROCPRIM_400000_NS6detail17trampoline_kernelINS0_14default_configENS1_22reduce_config_selectorIN6thrust23THRUST_200600_302600_NS5tupleIbffNS6_9null_typeES8_S8_S8_S8_S8_S8_EEEEZNS1_11reduce_implILb1ES3_NS6_11hip_rocprim26transform_input_iterator_tIS9_NS6_12zip_iteratorINS7_INS6_17counting_iteratorIiNS6_11use_defaultESG_SG_EENS6_6detail15normal_iteratorINS6_10device_ptrIfEEEES8_S8_S8_S8_S8_S8_S8_S8_EEEE15transform_tupleIifEEEPS9_S9_12reduce_tupleIifEEE10hipError_tPvRmT1_T2_T3_mT4_P12ihipStream_tbEUlT_E0_NS1_11comp_targetILNS1_3genE10ELNS1_11target_archE1200ELNS1_3gpuE4ELNS1_3repE0EEENS1_30default_config_static_selectorELNS0_4arch9wavefront6targetE0EEEvSY_: ; @_ZN7rocprim17ROCPRIM_400000_NS6detail17trampoline_kernelINS0_14default_configENS1_22reduce_config_selectorIN6thrust23THRUST_200600_302600_NS5tupleIbffNS6_9null_typeES8_S8_S8_S8_S8_S8_EEEEZNS1_11reduce_implILb1ES3_NS6_11hip_rocprim26transform_input_iterator_tIS9_NS6_12zip_iteratorINS7_INS6_17counting_iteratorIiNS6_11use_defaultESG_SG_EENS6_6detail15normal_iteratorINS6_10device_ptrIfEEEES8_S8_S8_S8_S8_S8_S8_S8_EEEE15transform_tupleIifEEEPS9_S9_12reduce_tupleIifEEE10hipError_tPvRmT1_T2_T3_mT4_P12ihipStream_tbEUlT_E0_NS1_11comp_targetILNS1_3genE10ELNS1_11target_archE1200ELNS1_3gpuE4ELNS1_3repE0EEENS1_30default_config_static_selectorELNS0_4arch9wavefront6targetE0EEEvSY_
; %bb.0:
	.section	.rodata,"a",@progbits
	.p2align	6, 0x0
	.amdhsa_kernel _ZN7rocprim17ROCPRIM_400000_NS6detail17trampoline_kernelINS0_14default_configENS1_22reduce_config_selectorIN6thrust23THRUST_200600_302600_NS5tupleIbffNS6_9null_typeES8_S8_S8_S8_S8_S8_EEEEZNS1_11reduce_implILb1ES3_NS6_11hip_rocprim26transform_input_iterator_tIS9_NS6_12zip_iteratorINS7_INS6_17counting_iteratorIiNS6_11use_defaultESG_SG_EENS6_6detail15normal_iteratorINS6_10device_ptrIfEEEES8_S8_S8_S8_S8_S8_S8_S8_EEEE15transform_tupleIifEEEPS9_S9_12reduce_tupleIifEEE10hipError_tPvRmT1_T2_T3_mT4_P12ihipStream_tbEUlT_E0_NS1_11comp_targetILNS1_3genE10ELNS1_11target_archE1200ELNS1_3gpuE4ELNS1_3repE0EEENS1_30default_config_static_selectorELNS0_4arch9wavefront6targetE0EEEvSY_
		.amdhsa_group_segment_fixed_size 0
		.amdhsa_private_segment_fixed_size 0
		.amdhsa_kernarg_size 80
		.amdhsa_user_sgpr_count 15
		.amdhsa_user_sgpr_dispatch_ptr 0
		.amdhsa_user_sgpr_queue_ptr 0
		.amdhsa_user_sgpr_kernarg_segment_ptr 1
		.amdhsa_user_sgpr_dispatch_id 0
		.amdhsa_user_sgpr_private_segment_size 0
		.amdhsa_wavefront_size32 1
		.amdhsa_uses_dynamic_stack 0
		.amdhsa_enable_private_segment 0
		.amdhsa_system_sgpr_workgroup_id_x 1
		.amdhsa_system_sgpr_workgroup_id_y 0
		.amdhsa_system_sgpr_workgroup_id_z 0
		.amdhsa_system_sgpr_workgroup_info 0
		.amdhsa_system_vgpr_workitem_id 0
		.amdhsa_next_free_vgpr 1
		.amdhsa_next_free_sgpr 1
		.amdhsa_reserve_vcc 0
		.amdhsa_float_round_mode_32 0
		.amdhsa_float_round_mode_16_64 0
		.amdhsa_float_denorm_mode_32 3
		.amdhsa_float_denorm_mode_16_64 3
		.amdhsa_dx10_clamp 1
		.amdhsa_ieee_mode 1
		.amdhsa_fp16_overflow 0
		.amdhsa_workgroup_processor_mode 1
		.amdhsa_memory_ordered 1
		.amdhsa_forward_progress 0
		.amdhsa_shared_vgpr_count 0
		.amdhsa_exception_fp_ieee_invalid_op 0
		.amdhsa_exception_fp_denorm_src 0
		.amdhsa_exception_fp_ieee_div_zero 0
		.amdhsa_exception_fp_ieee_overflow 0
		.amdhsa_exception_fp_ieee_underflow 0
		.amdhsa_exception_fp_ieee_inexact 0
		.amdhsa_exception_int_div_zero 0
	.end_amdhsa_kernel
	.section	.text._ZN7rocprim17ROCPRIM_400000_NS6detail17trampoline_kernelINS0_14default_configENS1_22reduce_config_selectorIN6thrust23THRUST_200600_302600_NS5tupleIbffNS6_9null_typeES8_S8_S8_S8_S8_S8_EEEEZNS1_11reduce_implILb1ES3_NS6_11hip_rocprim26transform_input_iterator_tIS9_NS6_12zip_iteratorINS7_INS6_17counting_iteratorIiNS6_11use_defaultESG_SG_EENS6_6detail15normal_iteratorINS6_10device_ptrIfEEEES8_S8_S8_S8_S8_S8_S8_S8_EEEE15transform_tupleIifEEEPS9_S9_12reduce_tupleIifEEE10hipError_tPvRmT1_T2_T3_mT4_P12ihipStream_tbEUlT_E0_NS1_11comp_targetILNS1_3genE10ELNS1_11target_archE1200ELNS1_3gpuE4ELNS1_3repE0EEENS1_30default_config_static_selectorELNS0_4arch9wavefront6targetE0EEEvSY_,"axG",@progbits,_ZN7rocprim17ROCPRIM_400000_NS6detail17trampoline_kernelINS0_14default_configENS1_22reduce_config_selectorIN6thrust23THRUST_200600_302600_NS5tupleIbffNS6_9null_typeES8_S8_S8_S8_S8_S8_EEEEZNS1_11reduce_implILb1ES3_NS6_11hip_rocprim26transform_input_iterator_tIS9_NS6_12zip_iteratorINS7_INS6_17counting_iteratorIiNS6_11use_defaultESG_SG_EENS6_6detail15normal_iteratorINS6_10device_ptrIfEEEES8_S8_S8_S8_S8_S8_S8_S8_EEEE15transform_tupleIifEEEPS9_S9_12reduce_tupleIifEEE10hipError_tPvRmT1_T2_T3_mT4_P12ihipStream_tbEUlT_E0_NS1_11comp_targetILNS1_3genE10ELNS1_11target_archE1200ELNS1_3gpuE4ELNS1_3repE0EEENS1_30default_config_static_selectorELNS0_4arch9wavefront6targetE0EEEvSY_,comdat
.Lfunc_end25:
	.size	_ZN7rocprim17ROCPRIM_400000_NS6detail17trampoline_kernelINS0_14default_configENS1_22reduce_config_selectorIN6thrust23THRUST_200600_302600_NS5tupleIbffNS6_9null_typeES8_S8_S8_S8_S8_S8_EEEEZNS1_11reduce_implILb1ES3_NS6_11hip_rocprim26transform_input_iterator_tIS9_NS6_12zip_iteratorINS7_INS6_17counting_iteratorIiNS6_11use_defaultESG_SG_EENS6_6detail15normal_iteratorINS6_10device_ptrIfEEEES8_S8_S8_S8_S8_S8_S8_S8_EEEE15transform_tupleIifEEEPS9_S9_12reduce_tupleIifEEE10hipError_tPvRmT1_T2_T3_mT4_P12ihipStream_tbEUlT_E0_NS1_11comp_targetILNS1_3genE10ELNS1_11target_archE1200ELNS1_3gpuE4ELNS1_3repE0EEENS1_30default_config_static_selectorELNS0_4arch9wavefront6targetE0EEEvSY_, .Lfunc_end25-_ZN7rocprim17ROCPRIM_400000_NS6detail17trampoline_kernelINS0_14default_configENS1_22reduce_config_selectorIN6thrust23THRUST_200600_302600_NS5tupleIbffNS6_9null_typeES8_S8_S8_S8_S8_S8_EEEEZNS1_11reduce_implILb1ES3_NS6_11hip_rocprim26transform_input_iterator_tIS9_NS6_12zip_iteratorINS7_INS6_17counting_iteratorIiNS6_11use_defaultESG_SG_EENS6_6detail15normal_iteratorINS6_10device_ptrIfEEEES8_S8_S8_S8_S8_S8_S8_S8_EEEE15transform_tupleIifEEEPS9_S9_12reduce_tupleIifEEE10hipError_tPvRmT1_T2_T3_mT4_P12ihipStream_tbEUlT_E0_NS1_11comp_targetILNS1_3genE10ELNS1_11target_archE1200ELNS1_3gpuE4ELNS1_3repE0EEENS1_30default_config_static_selectorELNS0_4arch9wavefront6targetE0EEEvSY_
                                        ; -- End function
	.section	.AMDGPU.csdata,"",@progbits
; Kernel info:
; codeLenInByte = 0
; NumSgprs: 0
; NumVgprs: 0
; ScratchSize: 0
; MemoryBound: 0
; FloatMode: 240
; IeeeMode: 1
; LDSByteSize: 0 bytes/workgroup (compile time only)
; SGPRBlocks: 0
; VGPRBlocks: 0
; NumSGPRsForWavesPerEU: 1
; NumVGPRsForWavesPerEU: 1
; Occupancy: 16
; WaveLimiterHint : 0
; COMPUTE_PGM_RSRC2:SCRATCH_EN: 0
; COMPUTE_PGM_RSRC2:USER_SGPR: 15
; COMPUTE_PGM_RSRC2:TRAP_HANDLER: 0
; COMPUTE_PGM_RSRC2:TGID_X_EN: 1
; COMPUTE_PGM_RSRC2:TGID_Y_EN: 0
; COMPUTE_PGM_RSRC2:TGID_Z_EN: 0
; COMPUTE_PGM_RSRC2:TIDIG_COMP_CNT: 0
	.section	.text._ZN7rocprim17ROCPRIM_400000_NS6detail17trampoline_kernelINS0_14default_configENS1_22reduce_config_selectorIN6thrust23THRUST_200600_302600_NS5tupleIbffNS6_9null_typeES8_S8_S8_S8_S8_S8_EEEEZNS1_11reduce_implILb1ES3_NS6_11hip_rocprim26transform_input_iterator_tIS9_NS6_12zip_iteratorINS7_INS6_17counting_iteratorIiNS6_11use_defaultESG_SG_EENS6_6detail15normal_iteratorINS6_10device_ptrIfEEEES8_S8_S8_S8_S8_S8_S8_S8_EEEE15transform_tupleIifEEEPS9_S9_12reduce_tupleIifEEE10hipError_tPvRmT1_T2_T3_mT4_P12ihipStream_tbEUlT_E0_NS1_11comp_targetILNS1_3genE9ELNS1_11target_archE1100ELNS1_3gpuE3ELNS1_3repE0EEENS1_30default_config_static_selectorELNS0_4arch9wavefront6targetE0EEEvSY_,"axG",@progbits,_ZN7rocprim17ROCPRIM_400000_NS6detail17trampoline_kernelINS0_14default_configENS1_22reduce_config_selectorIN6thrust23THRUST_200600_302600_NS5tupleIbffNS6_9null_typeES8_S8_S8_S8_S8_S8_EEEEZNS1_11reduce_implILb1ES3_NS6_11hip_rocprim26transform_input_iterator_tIS9_NS6_12zip_iteratorINS7_INS6_17counting_iteratorIiNS6_11use_defaultESG_SG_EENS6_6detail15normal_iteratorINS6_10device_ptrIfEEEES8_S8_S8_S8_S8_S8_S8_S8_EEEE15transform_tupleIifEEEPS9_S9_12reduce_tupleIifEEE10hipError_tPvRmT1_T2_T3_mT4_P12ihipStream_tbEUlT_E0_NS1_11comp_targetILNS1_3genE9ELNS1_11target_archE1100ELNS1_3gpuE3ELNS1_3repE0EEENS1_30default_config_static_selectorELNS0_4arch9wavefront6targetE0EEEvSY_,comdat
	.protected	_ZN7rocprim17ROCPRIM_400000_NS6detail17trampoline_kernelINS0_14default_configENS1_22reduce_config_selectorIN6thrust23THRUST_200600_302600_NS5tupleIbffNS6_9null_typeES8_S8_S8_S8_S8_S8_EEEEZNS1_11reduce_implILb1ES3_NS6_11hip_rocprim26transform_input_iterator_tIS9_NS6_12zip_iteratorINS7_INS6_17counting_iteratorIiNS6_11use_defaultESG_SG_EENS6_6detail15normal_iteratorINS6_10device_ptrIfEEEES8_S8_S8_S8_S8_S8_S8_S8_EEEE15transform_tupleIifEEEPS9_S9_12reduce_tupleIifEEE10hipError_tPvRmT1_T2_T3_mT4_P12ihipStream_tbEUlT_E0_NS1_11comp_targetILNS1_3genE9ELNS1_11target_archE1100ELNS1_3gpuE3ELNS1_3repE0EEENS1_30default_config_static_selectorELNS0_4arch9wavefront6targetE0EEEvSY_ ; -- Begin function _ZN7rocprim17ROCPRIM_400000_NS6detail17trampoline_kernelINS0_14default_configENS1_22reduce_config_selectorIN6thrust23THRUST_200600_302600_NS5tupleIbffNS6_9null_typeES8_S8_S8_S8_S8_S8_EEEEZNS1_11reduce_implILb1ES3_NS6_11hip_rocprim26transform_input_iterator_tIS9_NS6_12zip_iteratorINS7_INS6_17counting_iteratorIiNS6_11use_defaultESG_SG_EENS6_6detail15normal_iteratorINS6_10device_ptrIfEEEES8_S8_S8_S8_S8_S8_S8_S8_EEEE15transform_tupleIifEEEPS9_S9_12reduce_tupleIifEEE10hipError_tPvRmT1_T2_T3_mT4_P12ihipStream_tbEUlT_E0_NS1_11comp_targetILNS1_3genE9ELNS1_11target_archE1100ELNS1_3gpuE3ELNS1_3repE0EEENS1_30default_config_static_selectorELNS0_4arch9wavefront6targetE0EEEvSY_
	.globl	_ZN7rocprim17ROCPRIM_400000_NS6detail17trampoline_kernelINS0_14default_configENS1_22reduce_config_selectorIN6thrust23THRUST_200600_302600_NS5tupleIbffNS6_9null_typeES8_S8_S8_S8_S8_S8_EEEEZNS1_11reduce_implILb1ES3_NS6_11hip_rocprim26transform_input_iterator_tIS9_NS6_12zip_iteratorINS7_INS6_17counting_iteratorIiNS6_11use_defaultESG_SG_EENS6_6detail15normal_iteratorINS6_10device_ptrIfEEEES8_S8_S8_S8_S8_S8_S8_S8_EEEE15transform_tupleIifEEEPS9_S9_12reduce_tupleIifEEE10hipError_tPvRmT1_T2_T3_mT4_P12ihipStream_tbEUlT_E0_NS1_11comp_targetILNS1_3genE9ELNS1_11target_archE1100ELNS1_3gpuE3ELNS1_3repE0EEENS1_30default_config_static_selectorELNS0_4arch9wavefront6targetE0EEEvSY_
	.p2align	8
	.type	_ZN7rocprim17ROCPRIM_400000_NS6detail17trampoline_kernelINS0_14default_configENS1_22reduce_config_selectorIN6thrust23THRUST_200600_302600_NS5tupleIbffNS6_9null_typeES8_S8_S8_S8_S8_S8_EEEEZNS1_11reduce_implILb1ES3_NS6_11hip_rocprim26transform_input_iterator_tIS9_NS6_12zip_iteratorINS7_INS6_17counting_iteratorIiNS6_11use_defaultESG_SG_EENS6_6detail15normal_iteratorINS6_10device_ptrIfEEEES8_S8_S8_S8_S8_S8_S8_S8_EEEE15transform_tupleIifEEEPS9_S9_12reduce_tupleIifEEE10hipError_tPvRmT1_T2_T3_mT4_P12ihipStream_tbEUlT_E0_NS1_11comp_targetILNS1_3genE9ELNS1_11target_archE1100ELNS1_3gpuE3ELNS1_3repE0EEENS1_30default_config_static_selectorELNS0_4arch9wavefront6targetE0EEEvSY_,@function
_ZN7rocprim17ROCPRIM_400000_NS6detail17trampoline_kernelINS0_14default_configENS1_22reduce_config_selectorIN6thrust23THRUST_200600_302600_NS5tupleIbffNS6_9null_typeES8_S8_S8_S8_S8_S8_EEEEZNS1_11reduce_implILb1ES3_NS6_11hip_rocprim26transform_input_iterator_tIS9_NS6_12zip_iteratorINS7_INS6_17counting_iteratorIiNS6_11use_defaultESG_SG_EENS6_6detail15normal_iteratorINS6_10device_ptrIfEEEES8_S8_S8_S8_S8_S8_S8_S8_EEEE15transform_tupleIifEEEPS9_S9_12reduce_tupleIifEEE10hipError_tPvRmT1_T2_T3_mT4_P12ihipStream_tbEUlT_E0_NS1_11comp_targetILNS1_3genE9ELNS1_11target_archE1100ELNS1_3gpuE3ELNS1_3repE0EEENS1_30default_config_static_selectorELNS0_4arch9wavefront6targetE0EEEvSY_: ; @_ZN7rocprim17ROCPRIM_400000_NS6detail17trampoline_kernelINS0_14default_configENS1_22reduce_config_selectorIN6thrust23THRUST_200600_302600_NS5tupleIbffNS6_9null_typeES8_S8_S8_S8_S8_S8_EEEEZNS1_11reduce_implILb1ES3_NS6_11hip_rocprim26transform_input_iterator_tIS9_NS6_12zip_iteratorINS7_INS6_17counting_iteratorIiNS6_11use_defaultESG_SG_EENS6_6detail15normal_iteratorINS6_10device_ptrIfEEEES8_S8_S8_S8_S8_S8_S8_S8_EEEE15transform_tupleIifEEEPS9_S9_12reduce_tupleIifEEE10hipError_tPvRmT1_T2_T3_mT4_P12ihipStream_tbEUlT_E0_NS1_11comp_targetILNS1_3genE9ELNS1_11target_archE1100ELNS1_3gpuE3ELNS1_3repE0EEENS1_30default_config_static_selectorELNS0_4arch9wavefront6targetE0EEEvSY_
; %bb.0:
	s_mov_b32 s16, s15
	s_clause 0x3
	s_load_b256 s[4:11], s[0:1], 0x18
	s_load_b128 s[12:15], s[0:1], 0x8
	s_load_b32 s20, s[0:1], 0x0
	s_load_b64 s[18:19], s[0:1], 0x38
	s_mov_b32 s23, 0
	v_lshlrev_b32_e32 v4, 2, v0
	s_mov_b32 s17, s23
	s_waitcnt lgkmcnt(0)
	s_lshl_b64 s[2:3], s[4:5], 2
	s_delay_alu instid0(SALU_CYCLE_1)
	s_add_u32 s5, s12, s2
	s_addc_u32 s21, s13, s3
	s_lshl_b32 s22, s16, 10
	s_lshr_b64 s[2:3], s[6:7], 10
	s_add_i32 s20, s20, s22
	s_lshl_b64 s[12:13], s[22:23], 2
	s_add_i32 s23, s20, s4
	s_add_u32 s20, s5, s12
	s_addc_u32 s21, s21, s13
	s_cmp_lg_u64 s[2:3], s[16:17]
	s_cbranch_scc0 .LBB26_40
; %bb.1:
	s_clause 0x2
	global_load_b32 v6, v4, s[20:21] offset:1024
	global_load_b32 v7, v4, s[20:21] offset:2048
	;; [unrolled: 1-line block ×3, first 2 shown]
	s_abs_i32 s4, s15
	v_add_nc_u32_e32 v3, s23, v0
	v_cvt_f32_u32_e32 v1, s4
	s_sub_i32 s2, 0, s4
	s_delay_alu instid0(VALU_DEP_2) | instskip(NEXT) | instid1(VALU_DEP_2)
	v_sub_nc_u32_e32 v9, 0, v3
	v_rcp_iflag_f32_e32 v1, v1
	s_delay_alu instid0(VALU_DEP_1) | instskip(SKIP_2) | instid1(VALU_DEP_1)
	v_max_i32_e32 v9, v3, v9
	s_waitcnt_depctr 0xfff
	v_mul_f32_e32 v1, 0x4f7ffffe, v1
	v_cvt_u32_f32_e32 v1, v1
	s_delay_alu instid0(VALU_DEP_1) | instskip(NEXT) | instid1(VALU_DEP_1)
	v_mul_lo_u32 v2, s2, v1
	v_mul_hi_u32 v2, v1, v2
	s_delay_alu instid0(VALU_DEP_1) | instskip(NEXT) | instid1(VALU_DEP_1)
	v_add_nc_u32_e32 v13, v1, v2
	v_mul_hi_u32 v2, v9, v13
	s_delay_alu instid0(VALU_DEP_1) | instskip(NEXT) | instid1(VALU_DEP_1)
	v_mul_lo_u32 v2, v2, s4
	v_sub_nc_u32_e32 v2, v9, v2
	s_delay_alu instid0(VALU_DEP_1) | instskip(SKIP_1) | instid1(VALU_DEP_2)
	v_subrev_nc_u32_e32 v9, s4, v2
	v_cmp_le_u32_e32 vcc_lo, s4, v2
	v_cndmask_b32_e32 v2, v2, v9, vcc_lo
	v_add_nc_u32_e32 v8, 0x100, v3
	v_add_nc_u32_e32 v14, 0x200, v3
	;; [unrolled: 1-line block ×3, first 2 shown]
	s_delay_alu instid0(VALU_DEP_4) | instskip(NEXT) | instid1(VALU_DEP_4)
	v_subrev_nc_u32_e32 v9, s4, v2
	v_sub_nc_u32_e32 v10, 0, v8
	s_delay_alu instid0(VALU_DEP_1) | instskip(NEXT) | instid1(VALU_DEP_1)
	v_max_i32_e32 v1, v8, v10
	v_mul_hi_u32 v10, v1, v13
	s_delay_alu instid0(VALU_DEP_1) | instskip(NEXT) | instid1(VALU_DEP_1)
	v_mul_lo_u32 v10, v10, s4
	v_sub_nc_u32_e32 v1, v1, v10
	s_delay_alu instid0(VALU_DEP_1) | instskip(SKIP_1) | instid1(VALU_DEP_2)
	v_subrev_nc_u32_e32 v10, s4, v1
	v_cmp_le_u32_e32 vcc_lo, s4, v1
	v_cndmask_b32_e32 v1, v1, v10, vcc_lo
	v_cmp_le_u32_e32 vcc_lo, s4, v2
	v_ashrrev_i32_e32 v8, 31, v8
	v_ashrrev_i32_e32 v10, 31, v3
	v_sub_nc_u32_e32 v3, 0, v14
	v_subrev_nc_u32_e32 v11, s4, v1
	v_cndmask_b32_e32 v2, v2, v9, vcc_lo
	v_cmp_le_u32_e32 vcc_lo, s4, v1
	v_sub_nc_u32_e32 v9, 0, v15
	v_max_i32_e32 v12, v14, v3
	s_delay_alu instid0(VALU_DEP_4) | instskip(SKIP_1) | instid1(VALU_DEP_4)
	v_xor_b32_e32 v2, v2, v10
	v_cndmask_b32_e32 v1, v1, v11, vcc_lo
	v_max_i32_e32 v11, v15, v9
	s_delay_alu instid0(VALU_DEP_3) | instskip(NEXT) | instid1(VALU_DEP_3)
	v_sub_nc_u32_e32 v2, v2, v10
	v_xor_b32_e32 v1, v1, v8
	v_ashrrev_i32_e32 v10, 31, v14
	s_delay_alu instid0(VALU_DEP_3) | instskip(NEXT) | instid1(VALU_DEP_3)
	v_cmp_gt_i32_e64 s2, s14, v2
	v_sub_nc_u32_e32 v1, v1, v8
	v_mad_u64_u32 v[2:3], null, v12, v13, 0
	s_delay_alu instid0(VALU_DEP_2)
	v_cmp_gt_i32_e32 vcc_lo, s14, v1
	v_mad_u64_u32 v[1:2], null, v11, v13, 0
	v_ashrrev_i32_e32 v1, 31, v15
	v_cndmask_b32_e64 v9, 0, 1, vcc_lo
	s_waitcnt vmcnt(2)
	v_mov_b32_e32 v8, v6
	s_and_saveexec_b32 s5, s2
	s_cbranch_execz .LBB26_3
; %bb.2:
	v_add_co_u32 v8, s2, s20, v4
	s_delay_alu instid0(VALU_DEP_1)
	v_add_co_ci_u32_e64 v9, null, s21, 0, s2
	global_load_b32 v8, v[8:9], off
	v_mov_b32_e32 v9, 1
	s_waitcnt vmcnt(0)
	v_cmp_lt_f32_e64 s2, v6, v8
	v_cmp_lt_f32_e64 s3, v8, v6
	s_delay_alu instid0(VALU_DEP_2) | instskip(NEXT) | instid1(VALU_DEP_1)
	s_and_b32 s2, vcc_lo, s2
	s_and_b32 vcc_lo, vcc_lo, s3
	v_cndmask_b32_e64 v13, v8, v6, s2
	v_cndmask_b32_e32 v8, v8, v6, vcc_lo
	s_delay_alu instid0(VALU_DEP_2)
	v_mov_b32_e32 v6, v13
.LBB26_3:
	s_or_b32 exec_lo, exec_lo, s5
	v_mul_lo_u32 v3, v3, s4
	v_mul_lo_u32 v2, v2, s4
	s_waitcnt vmcnt(1)
	v_cmp_lt_f32_e64 s3, v7, v6
	v_cmp_lt_f32_e64 s2, v8, v7
	s_delay_alu instid0(VALU_DEP_4) | instskip(NEXT) | instid1(VALU_DEP_4)
	v_sub_nc_u32_e32 v3, v12, v3
	v_sub_nc_u32_e32 v2, v11, v2
	s_delay_alu instid0(VALU_DEP_2) | instskip(SKIP_1) | instid1(VALU_DEP_3)
	v_subrev_nc_u32_e32 v12, s4, v3
	v_cmp_le_u32_e32 vcc_lo, s4, v3
	v_subrev_nc_u32_e32 v11, s4, v2
	s_delay_alu instid0(VALU_DEP_3) | instskip(SKIP_1) | instid1(VALU_DEP_3)
	v_cndmask_b32_e32 v3, v3, v12, vcc_lo
	v_cmp_le_u32_e32 vcc_lo, s4, v2
	v_cndmask_b32_e32 v2, v2, v11, vcc_lo
	s_delay_alu instid0(VALU_DEP_3) | instskip(SKIP_1) | instid1(VALU_DEP_3)
	v_subrev_nc_u32_e32 v12, s4, v3
	v_cmp_le_u32_e32 vcc_lo, s4, v3
	v_subrev_nc_u32_e32 v11, s4, v2
	s_delay_alu instid0(VALU_DEP_3) | instskip(SKIP_1) | instid1(VALU_DEP_3)
	v_cndmask_b32_e32 v3, v3, v12, vcc_lo
	v_cmp_le_u32_e32 vcc_lo, s4, v2
	v_cndmask_b32_e32 v2, v2, v11, vcc_lo
	s_delay_alu instid0(VALU_DEP_3) | instskip(NEXT) | instid1(VALU_DEP_2)
	v_xor_b32_e32 v3, v3, v10
	v_xor_b32_e32 v2, v2, v1
	s_delay_alu instid0(VALU_DEP_2) | instskip(NEXT) | instid1(VALU_DEP_2)
	v_sub_nc_u32_e32 v3, v3, v10
	v_sub_nc_u32_e32 v1, v2, v1
	s_delay_alu instid0(VALU_DEP_2) | instskip(SKIP_1) | instid1(VALU_DEP_3)
	v_cmp_gt_i32_e32 vcc_lo, s14, v3
	v_and_b32_e32 v3, 1, v9
	v_cmp_gt_i32_e64 s4, s14, v1
	v_cndmask_b32_e64 v2, 0, 1, vcc_lo
	v_cndmask_b32_e64 v9, v9, 1, vcc_lo
	s_delay_alu instid0(VALU_DEP_4)
	v_cmp_eq_u32_e64 s5, 1, v3
	s_and_b32 s3, vcc_lo, s3
	s_and_b32 vcc_lo, vcc_lo, s2
	v_cndmask_b32_e64 v3, v6, v7, s3
	v_cndmask_b32_e32 v6, v8, v7, vcc_lo
	v_cndmask_b32_e64 v2, v2, v9, s5
	v_cndmask_b32_e64 v1, 0, 1, s4
	s_delay_alu instid0(VALU_DEP_4) | instskip(NEXT) | instid1(VALU_DEP_4)
	v_cndmask_b32_e64 v9, v7, v3, s5
	v_cndmask_b32_e64 v6, v7, v6, s5
	s_delay_alu instid0(VALU_DEP_4)
	v_and_b32_e32 v8, 1, v2
	v_cndmask_b32_e64 v2, v2, 1, s4
	s_waitcnt vmcnt(0)
	v_cmp_lt_f32_e64 s2, v5, v9
	v_cmp_lt_f32_e64 s3, v6, v5
	v_cmp_eq_u32_e32 vcc_lo, 1, v8
	s_delay_alu instid0(VALU_DEP_3) | instskip(SKIP_3) | instid1(SALU_CYCLE_1)
	s_and_b32 s2, s4, s2
	v_cndmask_b32_e32 v3, v1, v2, vcc_lo
	v_cndmask_b32_e64 v2, v9, v5, s2
	s_and_b32 s2, s4, s3
	v_cndmask_b32_e64 v6, v6, v5, s2
	s_delay_alu instid0(VALU_DEP_3) | instskip(SKIP_1) | instid1(VALU_DEP_1)
	v_and_b32_e32 v1, 0xffff, v3
	s_mov_b32 s2, exec_lo
	v_mov_b32_dpp v7, v1 quad_perm:[1,0,3,2] row_mask:0xf bank_mask:0xf
	v_cndmask_b32_e32 v1, v5, v2, vcc_lo
	v_cndmask_b32_e32 v2, v5, v6, vcc_lo
	s_delay_alu instid0(VALU_DEP_3) | instskip(NEXT) | instid1(VALU_DEP_3)
	v_and_b32_e32 v8, 1, v7
	v_mov_b32_dpp v6, v1 quad_perm:[1,0,3,2] row_mask:0xf bank_mask:0xf
	s_delay_alu instid0(VALU_DEP_3) | instskip(NEXT) | instid1(VALU_DEP_3)
	v_mov_b32_dpp v5, v2 quad_perm:[1,0,3,2] row_mask:0xf bank_mask:0xf
	v_cmpx_eq_u32_e32 1, v8
	s_xor_b32 s2, exec_lo, s2
	s_cbranch_execz .LBB26_7
; %bb.4:
	v_and_b32_e32 v3, 1, v3
	s_mov_b32 s3, exec_lo
	s_delay_alu instid0(VALU_DEP_1)
	v_cmpx_eq_u32_e32 1, v3
; %bb.5:
	v_cmp_lt_f32_e32 vcc_lo, v1, v6
	v_dual_mov_b32 v7, 1 :: v_dual_cndmask_b32 v6, v6, v1
	v_cmp_gt_f32_e32 vcc_lo, v2, v5
	v_cndmask_b32_e32 v5, v5, v2, vcc_lo
; %bb.6:
	s_or_b32 exec_lo, exec_lo, s3
	s_delay_alu instid0(VALU_DEP_1)
	v_dual_mov_b32 v3, v7 :: v_dual_mov_b32 v2, v5
	v_mov_b32_e32 v1, v6
.LBB26_7:
	s_or_b32 exec_lo, exec_lo, s2
	s_delay_alu instid0(VALU_DEP_2) | instskip(NEXT) | instid1(VALU_DEP_2)
	v_and_b32_e32 v5, 0xff, v3
	v_mov_b32_dpp v6, v1 quad_perm:[2,3,0,1] row_mask:0xf bank_mask:0xf
	s_mov_b32 s2, exec_lo
	s_delay_alu instid0(VALU_DEP_2) | instskip(SKIP_1) | instid1(VALU_DEP_2)
	v_mov_b32_dpp v7, v5 quad_perm:[2,3,0,1] row_mask:0xf bank_mask:0xf
	v_mov_b32_dpp v5, v2 quad_perm:[2,3,0,1] row_mask:0xf bank_mask:0xf
	v_and_b32_e32 v8, 1, v7
	s_delay_alu instid0(VALU_DEP_1)
	v_cmpx_eq_u32_e32 1, v8
	s_cbranch_execz .LBB26_11
; %bb.8:
	v_and_b32_e32 v3, 1, v3
	s_mov_b32 s3, exec_lo
	s_delay_alu instid0(VALU_DEP_1)
	v_cmpx_eq_u32_e32 1, v3
; %bb.9:
	v_cmp_lt_f32_e32 vcc_lo, v1, v6
	v_dual_mov_b32 v7, 1 :: v_dual_cndmask_b32 v6, v6, v1
	v_cmp_gt_f32_e32 vcc_lo, v2, v5
	v_cndmask_b32_e32 v5, v5, v2, vcc_lo
; %bb.10:
	s_or_b32 exec_lo, exec_lo, s3
	s_delay_alu instid0(VALU_DEP_1)
	v_dual_mov_b32 v3, v7 :: v_dual_mov_b32 v2, v5
	v_mov_b32_e32 v1, v6
.LBB26_11:
	s_or_b32 exec_lo, exec_lo, s2
	s_delay_alu instid0(VALU_DEP_2) | instskip(NEXT) | instid1(VALU_DEP_2)
	v_and_b32_e32 v5, 0xff, v3
	v_mov_b32_dpp v6, v1 row_ror:4 row_mask:0xf bank_mask:0xf
	s_mov_b32 s2, exec_lo
	s_delay_alu instid0(VALU_DEP_2) | instskip(SKIP_1) | instid1(VALU_DEP_2)
	v_mov_b32_dpp v7, v5 row_ror:4 row_mask:0xf bank_mask:0xf
	v_mov_b32_dpp v5, v2 row_ror:4 row_mask:0xf bank_mask:0xf
	v_and_b32_e32 v8, 1, v7
	s_delay_alu instid0(VALU_DEP_1)
	v_cmpx_eq_u32_e32 1, v8
	s_cbranch_execz .LBB26_15
; %bb.12:
	v_and_b32_e32 v3, 1, v3
	s_mov_b32 s3, exec_lo
	s_delay_alu instid0(VALU_DEP_1)
	v_cmpx_eq_u32_e32 1, v3
; %bb.13:
	v_cmp_lt_f32_e32 vcc_lo, v1, v6
	v_dual_mov_b32 v7, 1 :: v_dual_cndmask_b32 v6, v6, v1
	v_cmp_gt_f32_e32 vcc_lo, v2, v5
	v_cndmask_b32_e32 v5, v5, v2, vcc_lo
; %bb.14:
	s_or_b32 exec_lo, exec_lo, s3
	s_delay_alu instid0(VALU_DEP_1)
	v_dual_mov_b32 v3, v7 :: v_dual_mov_b32 v2, v5
	v_mov_b32_e32 v1, v6
.LBB26_15:
	s_or_b32 exec_lo, exec_lo, s2
	s_delay_alu instid0(VALU_DEP_2) | instskip(NEXT) | instid1(VALU_DEP_2)
	v_and_b32_e32 v5, 0xff, v3
	v_mov_b32_dpp v6, v1 row_ror:8 row_mask:0xf bank_mask:0xf
	s_mov_b32 s2, exec_lo
	s_delay_alu instid0(VALU_DEP_2) | instskip(SKIP_1) | instid1(VALU_DEP_2)
	v_mov_b32_dpp v7, v5 row_ror:8 row_mask:0xf bank_mask:0xf
	v_mov_b32_dpp v5, v2 row_ror:8 row_mask:0xf bank_mask:0xf
	v_and_b32_e32 v8, 1, v7
	s_delay_alu instid0(VALU_DEP_1)
	v_cmpx_eq_u32_e32 1, v8
	s_cbranch_execz .LBB26_19
; %bb.16:
	v_and_b32_e32 v3, 1, v3
	s_mov_b32 s3, exec_lo
	s_delay_alu instid0(VALU_DEP_1)
	v_cmpx_eq_u32_e32 1, v3
; %bb.17:
	v_cmp_lt_f32_e32 vcc_lo, v1, v6
	v_dual_mov_b32 v7, 1 :: v_dual_cndmask_b32 v6, v6, v1
	v_cmp_gt_f32_e32 vcc_lo, v2, v5
	v_cndmask_b32_e32 v5, v5, v2, vcc_lo
; %bb.18:
	s_or_b32 exec_lo, exec_lo, s3
	s_delay_alu instid0(VALU_DEP_1)
	v_dual_mov_b32 v3, v7 :: v_dual_mov_b32 v2, v5
	v_mov_b32_e32 v1, v6
.LBB26_19:
	s_or_b32 exec_lo, exec_lo, s2
	s_delay_alu instid0(VALU_DEP_2)
	v_and_b32_e32 v5, 0xff, v3
	ds_swizzle_b32 v6, v1 offset:swizzle(BROADCAST,32,15)
	s_mov_b32 s2, exec_lo
	ds_swizzle_b32 v7, v5 offset:swizzle(BROADCAST,32,15)
	ds_swizzle_b32 v5, v2 offset:swizzle(BROADCAST,32,15)
	s_waitcnt lgkmcnt(1)
	v_and_b32_e32 v8, 1, v7
	s_delay_alu instid0(VALU_DEP_1)
	v_cmpx_eq_u32_e32 1, v8
	s_cbranch_execz .LBB26_23
; %bb.20:
	v_and_b32_e32 v3, 1, v3
	s_mov_b32 s3, exec_lo
	s_delay_alu instid0(VALU_DEP_1)
	v_cmpx_eq_u32_e32 1, v3
	s_cbranch_execz .LBB26_22
; %bb.21:
	v_cmp_lt_f32_e32 vcc_lo, v1, v6
	v_dual_mov_b32 v7, 1 :: v_dual_cndmask_b32 v6, v6, v1
	s_waitcnt lgkmcnt(0)
	v_cmp_gt_f32_e32 vcc_lo, v2, v5
	v_cndmask_b32_e32 v5, v5, v2, vcc_lo
.LBB26_22:
	s_or_b32 exec_lo, exec_lo, s3
	s_waitcnt lgkmcnt(0)
	s_delay_alu instid0(VALU_DEP_1)
	v_dual_mov_b32 v3, v7 :: v_dual_mov_b32 v2, v5
	v_mov_b32_e32 v1, v6
.LBB26_23:
	s_or_b32 exec_lo, exec_lo, s2
	s_delay_alu instid0(VALU_DEP_2)
	v_dual_mov_b32 v6, 0 :: v_dual_and_b32 v3, 0xff, v3
	s_mov_b32 s2, exec_lo
	s_waitcnt lgkmcnt(0)
	ds_bpermute_b32 v5, v6, v3 offset:124
	ds_bpermute_b32 v1, v6, v1 offset:124
	;; [unrolled: 1-line block ×3, first 2 shown]
	v_mbcnt_lo_u32_b32 v3, -1, 0
	s_delay_alu instid0(VALU_DEP_1)
	v_cmpx_eq_u32_e32 0, v3
	s_cbranch_execz .LBB26_25
; %bb.24:
	v_lshrrev_b32_e32 v6, 5, v0
	s_delay_alu instid0(VALU_DEP_1)
	v_mul_u32_u24_e32 v6, 12, v6
	s_waitcnt lgkmcnt(2)
	ds_store_b8 v6, v5 offset:96
	s_waitcnt lgkmcnt(1)
	ds_store_2addr_b32 v6, v1, v2 offset0:25 offset1:26
.LBB26_25:
	s_or_b32 exec_lo, exec_lo, s2
	s_delay_alu instid0(SALU_CYCLE_1)
	s_mov_b32 s2, exec_lo
	s_waitcnt lgkmcnt(0)
	s_barrier
	buffer_gl0_inv
	v_cmpx_gt_u32_e32 32, v0
	s_cbranch_execz .LBB26_39
; %bb.26:
	v_and_b32_e32 v5, 7, v3
	s_mov_b32 s3, exec_lo
	s_delay_alu instid0(VALU_DEP_1) | instskip(SKIP_4) | instid1(VALU_DEP_1)
	v_mul_u32_u24_e32 v1, 12, v5
	v_cmp_ne_u32_e32 vcc_lo, 7, v5
	ds_load_u8 v7, v1 offset:96
	ds_load_2addr_b32 v[1:2], v1 offset0:25 offset1:26
	v_add_co_ci_u32_e32 v6, vcc_lo, 0, v3, vcc_lo
	v_lshlrev_b32_e32 v8, 2, v6
	s_waitcnt lgkmcnt(1)
	v_and_b32_e32 v9, 0xff, v7
	s_waitcnt lgkmcnt(0)
	ds_bpermute_b32 v6, v8, v1
	ds_bpermute_b32 v11, v8, v9
	;; [unrolled: 1-line block ×3, first 2 shown]
	v_and_b32_e32 v9, 1, v7
	s_delay_alu instid0(VALU_DEP_1)
	v_cmpx_eq_u32_e32 1, v9
	s_cbranch_execz .LBB26_30
; %bb.27:
	s_waitcnt lgkmcnt(1)
	v_and_b32_e32 v9, 1, v11
	s_mov_b32 s4, exec_lo
	s_delay_alu instid0(VALU_DEP_1)
	v_cmpx_eq_u32_e32 1, v9
	s_cbranch_execz .LBB26_29
; %bb.28:
	s_waitcnt lgkmcnt(0)
	v_cmp_lt_f32_e32 vcc_lo, v2, v8
	v_dual_mov_b32 v7, 1 :: v_dual_cndmask_b32 v2, v2, v8
	v_cmp_gt_f32_e32 vcc_lo, v1, v6
	v_cndmask_b32_e32 v1, v1, v6, vcc_lo
.LBB26_29:
	s_or_b32 exec_lo, exec_lo, s4
	s_delay_alu instid0(VALU_DEP_1)
	v_dual_mov_b32 v11, v7 :: v_dual_mov_b32 v6, v1
	s_waitcnt lgkmcnt(0)
	v_mov_b32_e32 v8, v2
.LBB26_30:
	s_or_b32 exec_lo, exec_lo, s3
	v_cmp_gt_u32_e32 vcc_lo, 6, v5
	s_waitcnt lgkmcnt(1)
	v_and_b32_e32 v2, 0xff, v11
	s_mov_b32 s3, exec_lo
	v_cndmask_b32_e64 v1, 0, 1, vcc_lo
	s_delay_alu instid0(VALU_DEP_1) | instskip(NEXT) | instid1(VALU_DEP_1)
	v_lshlrev_b32_e32 v1, 1, v1
	v_add_lshl_u32 v1, v1, v3, 2
	ds_bpermute_b32 v10, v1, v2
	ds_bpermute_b32 v7, v1, v6
	s_waitcnt lgkmcnt(2)
	ds_bpermute_b32 v9, v1, v8
	v_and_b32_e32 v1, 1, v11
	s_delay_alu instid0(VALU_DEP_1)
	v_cmpx_eq_u32_e32 1, v1
	s_cbranch_execz .LBB26_34
; %bb.31:
	s_waitcnt lgkmcnt(2)
	v_and_b32_e32 v1, 1, v10
	s_mov_b32 s4, exec_lo
	s_delay_alu instid0(VALU_DEP_1)
	v_cmpx_eq_u32_e32 1, v1
	s_cbranch_execz .LBB26_33
; %bb.32:
	s_waitcnt lgkmcnt(0)
	v_cmp_lt_f32_e32 vcc_lo, v8, v9
	v_dual_mov_b32 v11, 1 :: v_dual_cndmask_b32 v8, v8, v9
	v_cmp_gt_f32_e32 vcc_lo, v6, v7
	v_cndmask_b32_e32 v6, v6, v7, vcc_lo
.LBB26_33:
	s_or_b32 exec_lo, exec_lo, s4
	s_waitcnt lgkmcnt(1)
	s_delay_alu instid0(VALU_DEP_1)
	v_dual_mov_b32 v10, v11 :: v_dual_mov_b32 v7, v6
	s_waitcnt lgkmcnt(0)
	v_mov_b32_e32 v9, v8
.LBB26_34:
	s_or_b32 exec_lo, exec_lo, s3
	v_cmp_gt_u32_e32 vcc_lo, 4, v5
	s_waitcnt lgkmcnt(2)
	v_and_b32_e32 v2, 0xff, v10
	s_mov_b32 s3, exec_lo
	v_cndmask_b32_e64 v1, 0, 1, vcc_lo
	s_delay_alu instid0(VALU_DEP_1) | instskip(NEXT) | instid1(VALU_DEP_1)
	v_lshlrev_b32_e32 v1, 2, v1
	v_add_lshl_u32 v5, v1, v3, 2
	ds_bpermute_b32 v3, v5, v2
	s_waitcnt lgkmcnt(2)
	ds_bpermute_b32 v1, v5, v7
	s_waitcnt lgkmcnt(2)
	ds_bpermute_b32 v2, v5, v9
	v_and_b32_e32 v5, 1, v10
	s_delay_alu instid0(VALU_DEP_1)
	v_cmpx_eq_u32_e32 1, v5
	s_cbranch_execz .LBB26_38
; %bb.35:
	s_waitcnt lgkmcnt(2)
	v_and_b32_e32 v3, 1, v3
	s_mov_b32 s4, exec_lo
	s_delay_alu instid0(VALU_DEP_1)
	v_cmpx_eq_u32_e32 1, v3
	s_cbranch_execz .LBB26_37
; %bb.36:
	s_waitcnt lgkmcnt(0)
	v_cmp_lt_f32_e32 vcc_lo, v9, v2
	v_dual_mov_b32 v10, 1 :: v_dual_cndmask_b32 v9, v9, v2
	v_cmp_gt_f32_e32 vcc_lo, v7, v1
	v_cndmask_b32_e32 v7, v7, v1, vcc_lo
.LBB26_37:
	s_or_b32 exec_lo, exec_lo, s4
	s_waitcnt lgkmcnt(0)
	v_dual_mov_b32 v3, v10 :: v_dual_mov_b32 v2, v9
	s_delay_alu instid0(VALU_DEP_2)
	v_mov_b32_e32 v1, v7
.LBB26_38:
	s_or_b32 exec_lo, exec_lo, s3
	s_waitcnt lgkmcnt(2)
	s_delay_alu instid0(VALU_DEP_2)
	v_and_b32_e32 v5, 0xff, v3
.LBB26_39:
	s_or_b32 exec_lo, exec_lo, s2
	s_load_b64 s[12:13], s[0:1], 0x44
	s_branch .LBB26_120
.LBB26_40:
                                        ; implicit-def: $vgpr2
                                        ; implicit-def: $vgpr5
	s_load_b64 s[12:13], s[0:1], 0x44
	s_cbranch_execz .LBB26_120
; %bb.41:
	s_waitcnt lgkmcnt(0)
	v_mov_b32_e32 v1, 0
	v_mov_b32_e32 v3, 0
	;; [unrolled: 1-line block ×3, first 2 shown]
	s_sub_i32 s5, s6, s22
	s_mov_b32 s2, exec_lo
	v_cmpx_gt_u32_e64 s5, v0
	s_cbranch_execz .LBB26_43
; %bb.42:
	global_load_b32 v1, v4, s[20:21]
	s_abs_i32 s3, s15
	v_add_nc_u32_e32 v6, s23, v0
	v_cvt_f32_u32_e32 v2, s3
	s_sub_i32 s4, 0, s3
	s_delay_alu instid0(VALU_DEP_2) | instskip(NEXT) | instid1(VALU_DEP_2)
	v_sub_nc_u32_e32 v7, 0, v6
	v_rcp_iflag_f32_e32 v2, v2
	s_delay_alu instid0(VALU_DEP_1) | instskip(SKIP_3) | instid1(VALU_DEP_1)
	v_max_i32_e32 v7, v6, v7
	v_ashrrev_i32_e32 v6, 31, v6
	s_waitcnt_depctr 0xfff
	v_mul_f32_e32 v2, 0x4f7ffffe, v2
	v_cvt_u32_f32_e32 v2, v2
	s_delay_alu instid0(VALU_DEP_1) | instskip(NEXT) | instid1(VALU_DEP_1)
	v_mul_lo_u32 v5, s4, v2
	v_mul_hi_u32 v5, v2, v5
	s_delay_alu instid0(VALU_DEP_1) | instskip(NEXT) | instid1(VALU_DEP_1)
	v_add_nc_u32_e32 v2, v2, v5
	v_mul_hi_u32 v2, v7, v2
	s_delay_alu instid0(VALU_DEP_1) | instskip(NEXT) | instid1(VALU_DEP_1)
	v_mul_lo_u32 v2, v2, s3
	v_sub_nc_u32_e32 v2, v7, v2
	s_delay_alu instid0(VALU_DEP_1) | instskip(SKIP_1) | instid1(VALU_DEP_2)
	v_subrev_nc_u32_e32 v5, s3, v2
	v_cmp_le_u32_e32 vcc_lo, s3, v2
	v_cndmask_b32_e32 v2, v2, v5, vcc_lo
	s_delay_alu instid0(VALU_DEP_1) | instskip(SKIP_1) | instid1(VALU_DEP_2)
	v_subrev_nc_u32_e32 v5, s3, v2
	v_cmp_le_u32_e32 vcc_lo, s3, v2
	v_cndmask_b32_e32 v2, v2, v5, vcc_lo
	s_delay_alu instid0(VALU_DEP_1) | instskip(NEXT) | instid1(VALU_DEP_1)
	v_xor_b32_e32 v2, v2, v6
	v_sub_nc_u32_e32 v2, v2, v6
	s_delay_alu instid0(VALU_DEP_1)
	v_cmp_gt_i32_e32 vcc_lo, s14, v2
	v_cndmask_b32_e64 v7, 0, 1, vcc_lo
.LBB26_43:
	s_or_b32 exec_lo, exec_lo, s2
	v_or_b32_e32 v2, 0x100, v0
	v_mov_b32_e32 v10, 0
	s_delay_alu instid0(VALU_DEP_2) | instskip(NEXT) | instid1(VALU_DEP_1)
	v_cmp_gt_u32_e64 s3, s5, v2
	s_and_saveexec_b32 s2, s3
	s_cbranch_execz .LBB26_45
; %bb.44:
	global_load_b32 v3, v4, s[20:21] offset:1024
	s_abs_i32 s4, s15
	v_add_nc_u32_e32 v2, s23, v2
	v_cvt_f32_u32_e32 v5, s4
	s_sub_i32 s17, 0, s4
	s_delay_alu instid0(VALU_DEP_2) | instskip(NEXT) | instid1(VALU_DEP_2)
	v_sub_nc_u32_e32 v8, 0, v2
	v_rcp_iflag_f32_e32 v5, v5
	s_delay_alu instid0(VALU_DEP_1) | instskip(SKIP_3) | instid1(VALU_DEP_1)
	v_max_i32_e32 v8, v2, v8
	v_ashrrev_i32_e32 v2, 31, v2
	s_waitcnt_depctr 0xfff
	v_mul_f32_e32 v5, 0x4f7ffffe, v5
	v_cvt_u32_f32_e32 v5, v5
	s_delay_alu instid0(VALU_DEP_1) | instskip(NEXT) | instid1(VALU_DEP_1)
	v_mul_lo_u32 v6, s17, v5
	v_mul_hi_u32 v6, v5, v6
	s_delay_alu instid0(VALU_DEP_1) | instskip(NEXT) | instid1(VALU_DEP_1)
	v_add_nc_u32_e32 v5, v5, v6
	v_mul_hi_u32 v5, v8, v5
	s_delay_alu instid0(VALU_DEP_1) | instskip(NEXT) | instid1(VALU_DEP_1)
	v_mul_lo_u32 v5, v5, s4
	v_sub_nc_u32_e32 v5, v8, v5
	s_delay_alu instid0(VALU_DEP_1) | instskip(SKIP_1) | instid1(VALU_DEP_2)
	v_subrev_nc_u32_e32 v6, s4, v5
	v_cmp_le_u32_e32 vcc_lo, s4, v5
	v_cndmask_b32_e32 v5, v5, v6, vcc_lo
	s_delay_alu instid0(VALU_DEP_1) | instskip(SKIP_1) | instid1(VALU_DEP_2)
	v_subrev_nc_u32_e32 v6, s4, v5
	v_cmp_le_u32_e32 vcc_lo, s4, v5
	v_cndmask_b32_e32 v5, v5, v6, vcc_lo
	s_delay_alu instid0(VALU_DEP_1) | instskip(NEXT) | instid1(VALU_DEP_1)
	v_xor_b32_e32 v5, v5, v2
	v_sub_nc_u32_e32 v2, v5, v2
	s_delay_alu instid0(VALU_DEP_1)
	v_cmp_gt_i32_e32 vcc_lo, s14, v2
	v_cndmask_b32_e64 v10, 0, 1, vcc_lo
.LBB26_45:
	s_or_b32 exec_lo, exec_lo, s2
	v_or_b32_e32 v2, 0x200, v0
	v_dual_mov_b32 v8, 0 :: v_dual_mov_b32 v5, 0
	v_mov_b32_e32 v9, 0
	s_delay_alu instid0(VALU_DEP_3) | instskip(NEXT) | instid1(VALU_DEP_1)
	v_cmp_gt_u32_e64 s2, s5, v2
	s_and_saveexec_b32 s4, s2
	s_cbranch_execz .LBB26_47
; %bb.46:
	global_load_b32 v8, v4, s[20:21] offset:2048
	s_abs_i32 s17, s15
	v_add_nc_u32_e32 v2, s23, v2
	v_cvt_f32_u32_e32 v6, s17
	s_sub_i32 s22, 0, s17
	s_delay_alu instid0(VALU_DEP_2) | instskip(NEXT) | instid1(VALU_DEP_2)
	v_sub_nc_u32_e32 v11, 0, v2
	v_rcp_iflag_f32_e32 v6, v6
	s_delay_alu instid0(VALU_DEP_1) | instskip(SKIP_3) | instid1(VALU_DEP_1)
	v_max_i32_e32 v11, v2, v11
	v_ashrrev_i32_e32 v2, 31, v2
	s_waitcnt_depctr 0xfff
	v_mul_f32_e32 v6, 0x4f7ffffe, v6
	v_cvt_u32_f32_e32 v6, v6
	s_delay_alu instid0(VALU_DEP_1) | instskip(NEXT) | instid1(VALU_DEP_1)
	v_mul_lo_u32 v9, s22, v6
	v_mul_hi_u32 v9, v6, v9
	s_delay_alu instid0(VALU_DEP_1) | instskip(NEXT) | instid1(VALU_DEP_1)
	v_add_nc_u32_e32 v6, v6, v9
	v_mul_hi_u32 v6, v11, v6
	s_delay_alu instid0(VALU_DEP_1) | instskip(NEXT) | instid1(VALU_DEP_1)
	v_mul_lo_u32 v6, v6, s17
	v_sub_nc_u32_e32 v6, v11, v6
	s_delay_alu instid0(VALU_DEP_1) | instskip(SKIP_1) | instid1(VALU_DEP_2)
	v_subrev_nc_u32_e32 v9, s17, v6
	v_cmp_le_u32_e32 vcc_lo, s17, v6
	v_cndmask_b32_e32 v6, v6, v9, vcc_lo
	s_delay_alu instid0(VALU_DEP_1) | instskip(SKIP_1) | instid1(VALU_DEP_2)
	v_subrev_nc_u32_e32 v9, s17, v6
	v_cmp_le_u32_e32 vcc_lo, s17, v6
	v_cndmask_b32_e32 v6, v6, v9, vcc_lo
	s_delay_alu instid0(VALU_DEP_1) | instskip(NEXT) | instid1(VALU_DEP_1)
	v_xor_b32_e32 v6, v6, v2
	v_sub_nc_u32_e32 v2, v6, v2
	s_delay_alu instid0(VALU_DEP_1)
	v_cmp_gt_i32_e32 vcc_lo, s14, v2
	v_cndmask_b32_e64 v9, 0, 1, vcc_lo
.LBB26_47:
	s_or_b32 exec_lo, exec_lo, s4
	v_or_b32_e32 v2, 0x300, v0
	v_mov_b32_e32 v6, 0
	s_delay_alu instid0(VALU_DEP_2)
	v_cmp_gt_u32_e32 vcc_lo, s5, v2
	s_and_saveexec_b32 s17, vcc_lo
	s_cbranch_execnz .LBB26_51
; %bb.48:
	s_or_b32 exec_lo, exec_lo, s17
	s_waitcnt vmcnt(0)
	v_mov_b32_e32 v2, v1
	s_and_saveexec_b32 s4, s3
	s_cbranch_execnz .LBB26_52
.LBB26_49:
	s_or_b32 exec_lo, exec_lo, s4
	s_and_saveexec_b32 s3, s2
	s_cbranch_execnz .LBB26_57
.LBB26_50:
	s_or_b32 exec_lo, exec_lo, s3
	s_and_saveexec_b32 s2, vcc_lo
	s_cbranch_execnz .LBB26_62
	s_branch .LBB26_67
.LBB26_51:
	global_load_b32 v6, v4, s[20:21] offset:3072
	s_abs_i32 s15, s15
	v_add_nc_u32_e32 v2, s23, v2
	v_cvt_f32_u32_e32 v4, s15
	s_sub_i32 s4, 0, s15
	s_delay_alu instid0(VALU_DEP_2) | instskip(NEXT) | instid1(VALU_DEP_2)
	v_sub_nc_u32_e32 v11, 0, v2
	v_rcp_iflag_f32_e32 v4, v4
	s_delay_alu instid0(VALU_DEP_1) | instskip(SKIP_3) | instid1(VALU_DEP_1)
	v_max_i32_e32 v11, v2, v11
	v_ashrrev_i32_e32 v2, 31, v2
	s_waitcnt_depctr 0xfff
	v_mul_f32_e32 v4, 0x4f7ffffe, v4
	v_cvt_u32_f32_e32 v4, v4
	s_delay_alu instid0(VALU_DEP_1) | instskip(NEXT) | instid1(VALU_DEP_1)
	v_mul_lo_u32 v5, s4, v4
	v_mul_hi_u32 v5, v4, v5
	s_delay_alu instid0(VALU_DEP_1) | instskip(NEXT) | instid1(VALU_DEP_1)
	v_add_nc_u32_e32 v4, v4, v5
	v_mul_hi_u32 v4, v11, v4
	s_delay_alu instid0(VALU_DEP_1) | instskip(NEXT) | instid1(VALU_DEP_1)
	v_mul_lo_u32 v4, v4, s15
	v_sub_nc_u32_e32 v4, v11, v4
	s_delay_alu instid0(VALU_DEP_1) | instskip(SKIP_1) | instid1(VALU_DEP_1)
	v_subrev_nc_u32_e32 v5, s15, v4
	v_cmp_le_u32_e64 s4, s15, v4
	v_cndmask_b32_e64 v4, v4, v5, s4
	s_delay_alu instid0(VALU_DEP_1) | instskip(SKIP_1) | instid1(VALU_DEP_1)
	v_subrev_nc_u32_e32 v5, s15, v4
	v_cmp_le_u32_e64 s4, s15, v4
	v_cndmask_b32_e64 v4, v4, v5, s4
	s_delay_alu instid0(VALU_DEP_1) | instskip(NEXT) | instid1(VALU_DEP_1)
	v_xor_b32_e32 v4, v4, v2
	v_sub_nc_u32_e32 v2, v4, v2
	s_delay_alu instid0(VALU_DEP_1) | instskip(NEXT) | instid1(VALU_DEP_1)
	v_cmp_gt_i32_e64 s4, s14, v2
	v_cndmask_b32_e64 v5, 0, 1, s4
	s_or_b32 exec_lo, exec_lo, s17
	s_waitcnt vmcnt(1)
	v_mov_b32_e32 v2, v1
	s_and_saveexec_b32 s4, s3
	s_cbranch_execz .LBB26_49
.LBB26_52:
	v_and_b32_e32 v2, 1, v7
	s_delay_alu instid0(VALU_DEP_1) | instskip(SKIP_1) | instid1(VALU_DEP_2)
	v_cmp_eq_u32_e64 s3, 1, v2
	v_mov_b32_e32 v2, v3
	s_and_saveexec_b32 s14, s3
	s_cbranch_execz .LBB26_56
; %bb.53:
	v_and_b32_e32 v2, 1, v10
	s_delay_alu instid0(VALU_DEP_1) | instskip(SKIP_1) | instid1(VALU_DEP_2)
	v_cmp_eq_u32_e64 s3, 1, v2
	v_mov_b32_e32 v2, v1
	s_and_saveexec_b32 s15, s3
; %bb.54:
	v_cmp_lt_f32_e64 s3, v3, v1
	v_mov_b32_e32 v7, 1
	s_delay_alu instid0(VALU_DEP_2) | instskip(SKIP_1) | instid1(VALU_DEP_1)
	v_cndmask_b32_e64 v2, v1, v3, s3
	v_cmp_lt_f32_e64 s3, v1, v3
	v_cndmask_b32_e64 v1, v1, v3, s3
; %bb.55:
	s_or_b32 exec_lo, exec_lo, s15
	s_delay_alu instid0(VALU_DEP_1)
	v_dual_mov_b32 v3, v1 :: v_dual_mov_b32 v10, v7
.LBB26_56:
	s_or_b32 exec_lo, exec_lo, s14
	s_delay_alu instid0(VALU_DEP_1) | instskip(NEXT) | instid1(VALU_DEP_2)
	v_mov_b32_e32 v7, v10
	v_dual_mov_b32 v1, v2 :: v_dual_mov_b32 v2, v3
	s_or_b32 exec_lo, exec_lo, s4
	s_and_saveexec_b32 s3, s2
	s_cbranch_execz .LBB26_50
.LBB26_57:
	v_and_b32_e32 v3, 1, v7
	s_delay_alu instid0(VALU_DEP_1) | instskip(SKIP_1) | instid1(VALU_DEP_2)
	v_cmp_eq_u32_e64 s2, 1, v3
	v_mov_b32_e32 v3, v8
	s_and_saveexec_b32 s4, s2
	s_cbranch_execz .LBB26_61
; %bb.58:
	v_and_b32_e32 v3, 1, v9
	s_mov_b32 s14, exec_lo
	s_delay_alu instid0(VALU_DEP_1)
	v_cmpx_eq_u32_e32 1, v3
; %bb.59:
	v_cmp_lt_f32_e64 s2, v8, v1
	v_mov_b32_e32 v7, 1
	s_delay_alu instid0(VALU_DEP_2) | instskip(SKIP_1) | instid1(VALU_DEP_1)
	v_cndmask_b32_e64 v1, v1, v8, s2
	v_cmp_lt_f32_e64 s2, v2, v8
	v_cndmask_b32_e64 v2, v2, v8, s2
; %bb.60:
	s_or_b32 exec_lo, exec_lo, s14
	s_delay_alu instid0(VALU_DEP_1)
	v_dual_mov_b32 v8, v2 :: v_dual_mov_b32 v3, v1
	v_mov_b32_e32 v9, v7
.LBB26_61:
	s_or_b32 exec_lo, exec_lo, s4
	s_delay_alu instid0(VALU_DEP_1) | instskip(NEXT) | instid1(VALU_DEP_2)
	v_dual_mov_b32 v7, v9 :: v_dual_mov_b32 v2, v8
	v_mov_b32_e32 v1, v3
	s_or_b32 exec_lo, exec_lo, s3
	s_and_saveexec_b32 s2, vcc_lo
	s_cbranch_execz .LBB26_67
.LBB26_62:
	v_and_b32_e32 v3, 1, v7
	s_delay_alu instid0(VALU_DEP_1)
	v_cmp_eq_u32_e32 vcc_lo, 1, v3
	s_waitcnt vmcnt(0)
	v_mov_b32_e32 v3, v6
	s_and_saveexec_b32 s3, vcc_lo
	s_cbranch_execz .LBB26_66
; %bb.63:
	v_and_b32_e32 v3, 1, v5
	s_mov_b32 s4, exec_lo
	s_delay_alu instid0(VALU_DEP_1)
	v_cmpx_eq_u32_e32 1, v3
; %bb.64:
	v_cmp_lt_f32_e32 vcc_lo, v6, v1
	v_mov_b32_e32 v7, 1
	v_cndmask_b32_e32 v1, v1, v6, vcc_lo
	v_cmp_lt_f32_e32 vcc_lo, v2, v6
	v_cndmask_b32_e32 v2, v2, v6, vcc_lo
; %bb.65:
	s_or_b32 exec_lo, exec_lo, s4
	s_delay_alu instid0(VALU_DEP_1)
	v_dual_mov_b32 v6, v2 :: v_dual_mov_b32 v3, v1
	v_mov_b32_e32 v5, v7
.LBB26_66:
	s_or_b32 exec_lo, exec_lo, s3
	s_delay_alu instid0(VALU_DEP_1) | instskip(NEXT) | instid1(VALU_DEP_2)
	v_dual_mov_b32 v7, v5 :: v_dual_mov_b32 v2, v6
	v_mov_b32_e32 v1, v3
.LBB26_67:
	s_or_b32 exec_lo, exec_lo, s2
	v_mbcnt_lo_u32_b32 v3, -1, 0
	s_waitcnt vmcnt(0)
	v_and_b32_e32 v6, 0xffff, v7
	s_min_u32 s2, s5, 0x100
	s_delay_alu instid0(VALU_DEP_2) | instskip(SKIP_2) | instid1(VALU_DEP_1)
	v_cmp_ne_u32_e32 vcc_lo, 31, v3
	v_add_nc_u32_e32 v5, 1, v3
	v_add_co_ci_u32_e32 v4, vcc_lo, 0, v3, vcc_lo
	v_lshlrev_b32_e32 v4, 2, v4
	ds_bpermute_b32 v10, v4, v6
	ds_bpermute_b32 v8, v4, v1
	;; [unrolled: 1-line block ×3, first 2 shown]
	v_and_b32_e32 v4, 0xe0, v0
	s_delay_alu instid0(VALU_DEP_1) | instskip(NEXT) | instid1(VALU_DEP_1)
	v_sub_nc_u32_e64 v4, s2, v4 clamp
	v_cmp_lt_u32_e32 vcc_lo, v5, v4
	v_mov_b32_e32 v5, v6
	s_and_saveexec_b32 s3, vcc_lo
	s_delay_alu instid0(SALU_CYCLE_1)
	s_xor_b32 s3, exec_lo, s3
	s_cbranch_execz .LBB26_73
; %bb.68:
	v_and_b32_e32 v5, 1, v7
	s_mov_b32 s4, exec_lo
	s_delay_alu instid0(VALU_DEP_1)
	v_cmpx_eq_u32_e32 1, v5
	s_cbranch_execz .LBB26_72
; %bb.69:
	s_waitcnt lgkmcnt(2)
	v_and_b32_e32 v5, 1, v10
	s_mov_b32 s5, exec_lo
	s_delay_alu instid0(VALU_DEP_1)
	v_cmpx_eq_u32_e32 1, v5
	s_cbranch_execz .LBB26_71
; %bb.70:
	s_waitcnt lgkmcnt(0)
	v_cmp_lt_f32_e32 vcc_lo, v2, v9
	v_mov_b32_e32 v6, 1
	v_cndmask_b32_e32 v2, v2, v9, vcc_lo
	v_cmp_gt_f32_e32 vcc_lo, v1, v8
	v_cndmask_b32_e32 v1, v1, v8, vcc_lo
.LBB26_71:
	s_or_b32 exec_lo, exec_lo, s5
	v_mov_b32_e32 v10, v6
	s_waitcnt lgkmcnt(0)
	s_delay_alu instid0(VALU_DEP_2)
	v_dual_mov_b32 v8, v1 :: v_dual_mov_b32 v9, v2
.LBB26_72:
	s_or_b32 exec_lo, exec_lo, s4
	s_waitcnt lgkmcnt(0)
	s_delay_alu instid0(VALU_DEP_1) | instskip(NEXT) | instid1(VALU_DEP_2)
	v_dual_mov_b32 v2, v9 :: v_dual_and_b32 v5, 0xff, v10
	v_dual_mov_b32 v1, v8 :: v_dual_mov_b32 v6, v10
.LBB26_73:
	s_or_b32 exec_lo, exec_lo, s3
	v_cmp_gt_u32_e32 vcc_lo, 30, v3
	s_waitcnt lgkmcnt(2)
	v_add_nc_u32_e32 v10, 2, v3
	s_mov_b32 s3, exec_lo
	v_cndmask_b32_e64 v7, 0, 1, vcc_lo
	s_delay_alu instid0(VALU_DEP_1) | instskip(SKIP_1) | instid1(VALU_DEP_1)
	v_lshlrev_b32_e32 v7, 1, v7
	s_waitcnt lgkmcnt(1)
	v_add_lshl_u32 v8, v7, v3, 2
	s_waitcnt lgkmcnt(0)
	ds_bpermute_b32 v9, v8, v5
	ds_bpermute_b32 v7, v8, v1
	ds_bpermute_b32 v8, v8, v2
	v_cmpx_lt_u32_e64 v10, v4
	s_cbranch_execz .LBB26_79
; %bb.74:
	v_and_b32_e32 v5, 1, v6
	s_mov_b32 s4, exec_lo
	s_delay_alu instid0(VALU_DEP_1)
	v_cmpx_eq_u32_e32 1, v5
	s_cbranch_execz .LBB26_78
; %bb.75:
	s_waitcnt lgkmcnt(2)
	v_and_b32_e32 v5, 1, v9
	s_mov_b32 s5, exec_lo
	s_delay_alu instid0(VALU_DEP_1)
	v_cmpx_eq_u32_e32 1, v5
	s_cbranch_execz .LBB26_77
; %bb.76:
	s_waitcnt lgkmcnt(0)
	v_cmp_lt_f32_e32 vcc_lo, v2, v8
	v_mov_b32_e32 v6, 1
	v_cndmask_b32_e32 v2, v2, v8, vcc_lo
	v_cmp_gt_f32_e32 vcc_lo, v1, v7
	v_cndmask_b32_e32 v1, v1, v7, vcc_lo
.LBB26_77:
	s_or_b32 exec_lo, exec_lo, s5
	v_mov_b32_e32 v9, v6
	s_waitcnt lgkmcnt(0)
	s_delay_alu instid0(VALU_DEP_2)
	v_dual_mov_b32 v7, v1 :: v_dual_mov_b32 v8, v2
.LBB26_78:
	s_or_b32 exec_lo, exec_lo, s4
	s_waitcnt lgkmcnt(0)
	s_delay_alu instid0(VALU_DEP_1) | instskip(NEXT) | instid1(VALU_DEP_2)
	v_dual_mov_b32 v2, v8 :: v_dual_and_b32 v5, 0xff, v9
	v_dual_mov_b32 v1, v7 :: v_dual_mov_b32 v6, v9
.LBB26_79:
	s_or_b32 exec_lo, exec_lo, s3
	v_cmp_gt_u32_e32 vcc_lo, 28, v3
	v_add_nc_u32_e32 v10, 4, v3
	s_mov_b32 s3, exec_lo
	s_waitcnt lgkmcnt(1)
	v_cndmask_b32_e64 v7, 0, 1, vcc_lo
	s_delay_alu instid0(VALU_DEP_1) | instskip(SKIP_1) | instid1(VALU_DEP_1)
	v_lshlrev_b32_e32 v7, 2, v7
	s_waitcnt lgkmcnt(0)
	v_add_lshl_u32 v8, v7, v3, 2
	ds_bpermute_b32 v9, v8, v5
	ds_bpermute_b32 v7, v8, v1
	ds_bpermute_b32 v8, v8, v2
	v_cmpx_lt_u32_e64 v10, v4
	s_cbranch_execz .LBB26_85
; %bb.80:
	v_and_b32_e32 v5, 1, v6
	s_mov_b32 s4, exec_lo
	s_delay_alu instid0(VALU_DEP_1)
	v_cmpx_eq_u32_e32 1, v5
	s_cbranch_execz .LBB26_84
; %bb.81:
	s_waitcnt lgkmcnt(2)
	v_and_b32_e32 v5, 1, v9
	s_mov_b32 s5, exec_lo
	s_delay_alu instid0(VALU_DEP_1)
	v_cmpx_eq_u32_e32 1, v5
	s_cbranch_execz .LBB26_83
; %bb.82:
	s_waitcnt lgkmcnt(0)
	v_cmp_lt_f32_e32 vcc_lo, v2, v8
	v_mov_b32_e32 v6, 1
	v_cndmask_b32_e32 v2, v2, v8, vcc_lo
	v_cmp_gt_f32_e32 vcc_lo, v1, v7
	v_cndmask_b32_e32 v1, v1, v7, vcc_lo
.LBB26_83:
	s_or_b32 exec_lo, exec_lo, s5
	v_mov_b32_e32 v9, v6
	s_waitcnt lgkmcnt(0)
	s_delay_alu instid0(VALU_DEP_2)
	v_dual_mov_b32 v7, v1 :: v_dual_mov_b32 v8, v2
.LBB26_84:
	s_or_b32 exec_lo, exec_lo, s4
	s_waitcnt lgkmcnt(0)
	s_delay_alu instid0(VALU_DEP_1) | instskip(NEXT) | instid1(VALU_DEP_2)
	v_dual_mov_b32 v2, v8 :: v_dual_and_b32 v5, 0xff, v9
	v_dual_mov_b32 v1, v7 :: v_dual_mov_b32 v6, v9
.LBB26_85:
	s_or_b32 exec_lo, exec_lo, s3
	v_cmp_gt_u32_e32 vcc_lo, 24, v3
	v_add_nc_u32_e32 v10, 8, v3
	s_mov_b32 s3, exec_lo
	s_waitcnt lgkmcnt(1)
	v_cndmask_b32_e64 v7, 0, 1, vcc_lo
	s_delay_alu instid0(VALU_DEP_1) | instskip(SKIP_1) | instid1(VALU_DEP_1)
	v_lshlrev_b32_e32 v7, 3, v7
	s_waitcnt lgkmcnt(0)
	v_add_lshl_u32 v8, v7, v3, 2
	;; [unrolled: 48-line block ×3, first 2 shown]
	ds_bpermute_b32 v9, v8, v5
	ds_bpermute_b32 v7, v8, v1
	;; [unrolled: 1-line block ×3, first 2 shown]
	v_cmpx_lt_u32_e64 v10, v4
	s_cbranch_execz .LBB26_97
; %bb.92:
	v_and_b32_e32 v4, 1, v6
	s_mov_b32 s4, exec_lo
	s_delay_alu instid0(VALU_DEP_1)
	v_cmpx_eq_u32_e32 1, v4
	s_cbranch_execz .LBB26_96
; %bb.93:
	s_waitcnt lgkmcnt(2)
	v_and_b32_e32 v4, 1, v9
	s_mov_b32 s5, exec_lo
	s_delay_alu instid0(VALU_DEP_1)
	v_cmpx_eq_u32_e32 1, v4
	s_cbranch_execz .LBB26_95
; %bb.94:
	s_waitcnt lgkmcnt(0)
	v_cmp_lt_f32_e32 vcc_lo, v2, v8
	v_mov_b32_e32 v6, 1
	v_cndmask_b32_e32 v2, v2, v8, vcc_lo
	v_cmp_gt_f32_e32 vcc_lo, v1, v7
	v_cndmask_b32_e32 v1, v1, v7, vcc_lo
.LBB26_95:
	s_or_b32 exec_lo, exec_lo, s5
	v_mov_b32_e32 v9, v6
	s_waitcnt lgkmcnt(0)
	s_delay_alu instid0(VALU_DEP_2)
	v_dual_mov_b32 v7, v1 :: v_dual_mov_b32 v8, v2
.LBB26_96:
	s_or_b32 exec_lo, exec_lo, s4
	s_waitcnt lgkmcnt(2)
	v_dual_mov_b32 v6, v9 :: v_dual_and_b32 v5, 0xff, v9
	s_waitcnt lgkmcnt(0)
	v_dual_mov_b32 v2, v8 :: v_dual_mov_b32 v1, v7
.LBB26_97:
	s_or_b32 exec_lo, exec_lo, s3
	s_delay_alu instid0(SALU_CYCLE_1)
	s_mov_b32 s3, exec_lo
	v_cmpx_eq_u32_e32 0, v3
	s_cbranch_execz .LBB26_99
; %bb.98:
	v_lshrrev_b32_e32 v4, 5, v0
	s_delay_alu instid0(VALU_DEP_1)
	v_mul_u32_u24_e32 v4, 12, v4
	ds_store_b8 v4, v6
	ds_store_2addr_b32 v4, v1, v2 offset0:1 offset1:2
.LBB26_99:
	s_or_b32 exec_lo, exec_lo, s3
	s_delay_alu instid0(SALU_CYCLE_1)
	s_mov_b32 s3, exec_lo
	s_waitcnt lgkmcnt(0)
	s_barrier
	buffer_gl0_inv
	v_cmpx_gt_u32_e32 8, v0
	s_cbranch_execz .LBB26_119
; %bb.100:
	v_mul_u32_u24_e32 v1, 12, v3
	s_add_i32 s2, s2, 31
	ds_load_u8 v4, v1
	ds_load_2addr_b32 v[1:2], v1 offset0:1 offset1:2
	v_and_b32_e32 v6, 7, v3
	s_lshr_b32 s2, s2, 5
	s_delay_alu instid0(VALU_DEP_1) | instskip(SKIP_1) | instid1(VALU_DEP_1)
	v_cmp_ne_u32_e32 vcc_lo, 7, v6
	v_add_co_ci_u32_e32 v5, vcc_lo, 0, v3, vcc_lo
	v_lshlrev_b32_e32 v7, 2, v5
	s_waitcnt lgkmcnt(0)
	v_dual_mov_b32 v8, v2 :: v_dual_and_b32 v5, 0xff, v4
	ds_bpermute_b32 v9, v7, v1
	ds_bpermute_b32 v10, v7, v2
	ds_bpermute_b32 v11, v7, v5
	v_add_nc_u32_e32 v7, 1, v6
	s_delay_alu instid0(VALU_DEP_1)
	v_cmp_gt_u32_e32 vcc_lo, s2, v7
	v_mov_b32_e32 v7, v1
	s_and_saveexec_b32 s4, vcc_lo
	s_cbranch_execz .LBB26_106
; %bb.101:
	v_and_b32_e32 v5, 1, v4
	s_mov_b32 s5, exec_lo
	s_delay_alu instid0(VALU_DEP_1)
	v_cmpx_eq_u32_e32 1, v5
	s_cbranch_execz .LBB26_105
; %bb.102:
	s_waitcnt lgkmcnt(0)
	v_and_b32_e32 v5, 1, v11
	s_mov_b32 s14, exec_lo
	s_delay_alu instid0(VALU_DEP_1)
	v_cmpx_eq_u32_e32 1, v5
; %bb.103:
	v_cmp_lt_f32_e32 vcc_lo, v2, v10
	v_mov_b32_e32 v4, 1
	v_cndmask_b32_e32 v2, v2, v10, vcc_lo
	v_cmp_gt_f32_e32 vcc_lo, v1, v9
	v_cndmask_b32_e32 v1, v1, v9, vcc_lo
; %bb.104:
	s_or_b32 exec_lo, exec_lo, s14
	s_delay_alu instid0(VALU_DEP_3) | instskip(NEXT) | instid1(VALU_DEP_2)
	v_dual_mov_b32 v11, v4 :: v_dual_mov_b32 v10, v2
	v_mov_b32_e32 v9, v1
.LBB26_105:
	s_or_b32 exec_lo, exec_lo, s5
	s_waitcnt lgkmcnt(0)
	s_delay_alu instid0(VALU_DEP_2) | instskip(NEXT) | instid1(VALU_DEP_2)
	v_dual_mov_b32 v8, v10 :: v_dual_and_b32 v5, 0xff, v11
	v_dual_mov_b32 v7, v9 :: v_dual_mov_b32 v4, v11
	v_dual_mov_b32 v2, v10 :: v_dual_mov_b32 v1, v9
.LBB26_106:
	s_or_b32 exec_lo, exec_lo, s4
	v_cmp_gt_u32_e32 vcc_lo, 6, v6
	v_add_nc_u32_e32 v12, 2, v6
	s_mov_b32 s4, exec_lo
	s_waitcnt lgkmcnt(2)
	v_cndmask_b32_e64 v9, 0, 1, vcc_lo
	s_delay_alu instid0(VALU_DEP_1) | instskip(SKIP_1) | instid1(VALU_DEP_1)
	v_lshlrev_b32_e32 v9, 1, v9
	s_waitcnt lgkmcnt(1)
	v_add_lshl_u32 v10, v9, v3, 2
	s_waitcnt lgkmcnt(0)
	ds_bpermute_b32 v11, v10, v5
	ds_bpermute_b32 v9, v10, v7
	ds_bpermute_b32 v10, v10, v8
	v_cmpx_gt_u32_e64 s2, v12
	s_cbranch_execz .LBB26_112
; %bb.107:
	v_and_b32_e32 v5, 1, v4
	s_mov_b32 s5, exec_lo
	s_delay_alu instid0(VALU_DEP_1)
	v_cmpx_eq_u32_e32 1, v5
	s_cbranch_execz .LBB26_111
; %bb.108:
	s_waitcnt lgkmcnt(2)
	v_and_b32_e32 v5, 1, v11
	s_mov_b32 s14, exec_lo
	s_delay_alu instid0(VALU_DEP_1)
	v_cmpx_eq_u32_e32 1, v5
	s_cbranch_execz .LBB26_110
; %bb.109:
	s_waitcnt lgkmcnt(0)
	v_cmp_lt_f32_e32 vcc_lo, v2, v10
	v_mov_b32_e32 v4, 1
	v_cndmask_b32_e32 v2, v2, v10, vcc_lo
	v_cmp_gt_f32_e32 vcc_lo, v1, v9
	v_cndmask_b32_e32 v1, v1, v9, vcc_lo
.LBB26_110:
	s_or_b32 exec_lo, exec_lo, s14
	s_waitcnt lgkmcnt(0)
	v_dual_mov_b32 v11, v4 :: v_dual_mov_b32 v10, v2
	s_delay_alu instid0(VALU_DEP_2)
	v_mov_b32_e32 v9, v1
.LBB26_111:
	s_or_b32 exec_lo, exec_lo, s5
	s_waitcnt lgkmcnt(0)
	s_delay_alu instid0(VALU_DEP_2) | instskip(NEXT) | instid1(VALU_DEP_2)
	v_dual_mov_b32 v8, v10 :: v_dual_and_b32 v5, 0xff, v11
	v_dual_mov_b32 v7, v9 :: v_dual_mov_b32 v4, v11
	v_dual_mov_b32 v2, v10 :: v_dual_mov_b32 v1, v9
.LBB26_112:
	s_or_b32 exec_lo, exec_lo, s4
	v_cmp_gt_u32_e32 vcc_lo, 4, v6
	v_add_nc_u32_e32 v6, 4, v6
	s_waitcnt lgkmcnt(1)
	v_cndmask_b32_e64 v9, 0, 1, vcc_lo
	s_delay_alu instid0(VALU_DEP_2) | instskip(NEXT) | instid1(VALU_DEP_2)
	v_cmp_gt_u32_e32 vcc_lo, s2, v6
	v_lshlrev_b32_e32 v9, 2, v9
	s_waitcnt lgkmcnt(0)
	s_delay_alu instid0(VALU_DEP_1)
	v_add_lshl_u32 v10, v9, v3, 2
	ds_bpermute_b32 v9, v10, v5
	ds_bpermute_b32 v3, v10, v7
	;; [unrolled: 1-line block ×3, first 2 shown]
	s_and_saveexec_b32 s2, vcc_lo
	s_cbranch_execz .LBB26_118
; %bb.113:
	v_and_b32_e32 v5, 1, v4
	s_mov_b32 s4, exec_lo
	s_delay_alu instid0(VALU_DEP_1)
	v_cmpx_eq_u32_e32 1, v5
	s_cbranch_execz .LBB26_117
; %bb.114:
	s_waitcnt lgkmcnt(2)
	v_and_b32_e32 v5, 1, v9
	s_mov_b32 s5, exec_lo
	s_delay_alu instid0(VALU_DEP_1)
	v_cmpx_eq_u32_e32 1, v5
	s_cbranch_execz .LBB26_116
; %bb.115:
	s_waitcnt lgkmcnt(0)
	v_cmp_lt_f32_e32 vcc_lo, v2, v7
	v_mov_b32_e32 v4, 1
	v_cndmask_b32_e32 v2, v2, v7, vcc_lo
	v_cmp_gt_f32_e32 vcc_lo, v1, v3
	v_cndmask_b32_e32 v1, v1, v3, vcc_lo
.LBB26_116:
	s_or_b32 exec_lo, exec_lo, s5
	v_mov_b32_e32 v9, v4
	s_waitcnt lgkmcnt(1)
	s_delay_alu instid0(VALU_DEP_2)
	v_mov_b32_e32 v3, v1
	s_waitcnt lgkmcnt(0)
	v_mov_b32_e32 v7, v2
.LBB26_117:
	s_or_b32 exec_lo, exec_lo, s4
	s_waitcnt lgkmcnt(0)
	s_delay_alu instid0(VALU_DEP_1)
	v_dual_mov_b32 v2, v7 :: v_dual_and_b32 v5, 0xff, v9
	v_mov_b32_e32 v1, v3
.LBB26_118:
	s_or_b32 exec_lo, exec_lo, s2
.LBB26_119:
	s_delay_alu instid0(SALU_CYCLE_1)
	s_or_b32 exec_lo, exec_lo, s3
.LBB26_120:
	s_load_b32 s0, s[0:1], 0x40
	s_mov_b32 s1, exec_lo
	v_cmpx_eq_u32_e32 0, v0
	s_cbranch_execz .LBB26_122
; %bb.121:
	s_mul_i32 s1, s18, s11
	s_mul_hi_u32 s2, s18, s10
	s_mul_i32 s3, s19, s10
	s_add_i32 s1, s2, s1
	s_mul_i32 s2, s18, s10
	s_add_i32 s1, s1, s3
	s_mul_hi_u32 s3, s2, 12
	s_mul_i32 s1, s1, 12
	s_mul_i32 s2, s2, 12
	s_add_i32 s3, s3, s1
	s_add_u32 s1, s8, s2
	s_addc_u32 s2, s9, s3
	s_cmp_eq_u64 s[6:7], 0
	s_waitcnt lgkmcnt(0)
	v_mov_b32_e32 v3, 0
	s_cselect_b32 s3, -1, 0
	s_delay_alu instid0(SALU_CYCLE_1)
	v_cndmask_b32_e64 v0, v5, s0, s3
	s_mul_i32 s0, s16, 12
	v_cndmask_b32_e64 v2, v2, s13, s3
	v_cndmask_b32_e64 v1, v1, s12, s3
	s_mul_hi_u32 s3, s16, 12
	s_add_u32 s0, s1, s0
	s_addc_u32 s1, s2, s3
	s_clause 0x1
	global_store_b8 v3, v0, s[0:1]
	global_store_b64 v3, v[1:2], s[0:1] offset:4
.LBB26_122:
	s_nop 0
	s_sendmsg sendmsg(MSG_DEALLOC_VGPRS)
	s_endpgm
	.section	.rodata,"a",@progbits
	.p2align	6, 0x0
	.amdhsa_kernel _ZN7rocprim17ROCPRIM_400000_NS6detail17trampoline_kernelINS0_14default_configENS1_22reduce_config_selectorIN6thrust23THRUST_200600_302600_NS5tupleIbffNS6_9null_typeES8_S8_S8_S8_S8_S8_EEEEZNS1_11reduce_implILb1ES3_NS6_11hip_rocprim26transform_input_iterator_tIS9_NS6_12zip_iteratorINS7_INS6_17counting_iteratorIiNS6_11use_defaultESG_SG_EENS6_6detail15normal_iteratorINS6_10device_ptrIfEEEES8_S8_S8_S8_S8_S8_S8_S8_EEEE15transform_tupleIifEEEPS9_S9_12reduce_tupleIifEEE10hipError_tPvRmT1_T2_T3_mT4_P12ihipStream_tbEUlT_E0_NS1_11comp_targetILNS1_3genE9ELNS1_11target_archE1100ELNS1_3gpuE3ELNS1_3repE0EEENS1_30default_config_static_selectorELNS0_4arch9wavefront6targetE0EEEvSY_
		.amdhsa_group_segment_fixed_size 192
		.amdhsa_private_segment_fixed_size 0
		.amdhsa_kernarg_size 80
		.amdhsa_user_sgpr_count 15
		.amdhsa_user_sgpr_dispatch_ptr 0
		.amdhsa_user_sgpr_queue_ptr 0
		.amdhsa_user_sgpr_kernarg_segment_ptr 1
		.amdhsa_user_sgpr_dispatch_id 0
		.amdhsa_user_sgpr_private_segment_size 0
		.amdhsa_wavefront_size32 1
		.amdhsa_uses_dynamic_stack 0
		.amdhsa_enable_private_segment 0
		.amdhsa_system_sgpr_workgroup_id_x 1
		.amdhsa_system_sgpr_workgroup_id_y 0
		.amdhsa_system_sgpr_workgroup_id_z 0
		.amdhsa_system_sgpr_workgroup_info 0
		.amdhsa_system_vgpr_workitem_id 0
		.amdhsa_next_free_vgpr 16
		.amdhsa_next_free_sgpr 24
		.amdhsa_reserve_vcc 1
		.amdhsa_float_round_mode_32 0
		.amdhsa_float_round_mode_16_64 0
		.amdhsa_float_denorm_mode_32 3
		.amdhsa_float_denorm_mode_16_64 3
		.amdhsa_dx10_clamp 1
		.amdhsa_ieee_mode 1
		.amdhsa_fp16_overflow 0
		.amdhsa_workgroup_processor_mode 1
		.amdhsa_memory_ordered 1
		.amdhsa_forward_progress 0
		.amdhsa_shared_vgpr_count 0
		.amdhsa_exception_fp_ieee_invalid_op 0
		.amdhsa_exception_fp_denorm_src 0
		.amdhsa_exception_fp_ieee_div_zero 0
		.amdhsa_exception_fp_ieee_overflow 0
		.amdhsa_exception_fp_ieee_underflow 0
		.amdhsa_exception_fp_ieee_inexact 0
		.amdhsa_exception_int_div_zero 0
	.end_amdhsa_kernel
	.section	.text._ZN7rocprim17ROCPRIM_400000_NS6detail17trampoline_kernelINS0_14default_configENS1_22reduce_config_selectorIN6thrust23THRUST_200600_302600_NS5tupleIbffNS6_9null_typeES8_S8_S8_S8_S8_S8_EEEEZNS1_11reduce_implILb1ES3_NS6_11hip_rocprim26transform_input_iterator_tIS9_NS6_12zip_iteratorINS7_INS6_17counting_iteratorIiNS6_11use_defaultESG_SG_EENS6_6detail15normal_iteratorINS6_10device_ptrIfEEEES8_S8_S8_S8_S8_S8_S8_S8_EEEE15transform_tupleIifEEEPS9_S9_12reduce_tupleIifEEE10hipError_tPvRmT1_T2_T3_mT4_P12ihipStream_tbEUlT_E0_NS1_11comp_targetILNS1_3genE9ELNS1_11target_archE1100ELNS1_3gpuE3ELNS1_3repE0EEENS1_30default_config_static_selectorELNS0_4arch9wavefront6targetE0EEEvSY_,"axG",@progbits,_ZN7rocprim17ROCPRIM_400000_NS6detail17trampoline_kernelINS0_14default_configENS1_22reduce_config_selectorIN6thrust23THRUST_200600_302600_NS5tupleIbffNS6_9null_typeES8_S8_S8_S8_S8_S8_EEEEZNS1_11reduce_implILb1ES3_NS6_11hip_rocprim26transform_input_iterator_tIS9_NS6_12zip_iteratorINS7_INS6_17counting_iteratorIiNS6_11use_defaultESG_SG_EENS6_6detail15normal_iteratorINS6_10device_ptrIfEEEES8_S8_S8_S8_S8_S8_S8_S8_EEEE15transform_tupleIifEEEPS9_S9_12reduce_tupleIifEEE10hipError_tPvRmT1_T2_T3_mT4_P12ihipStream_tbEUlT_E0_NS1_11comp_targetILNS1_3genE9ELNS1_11target_archE1100ELNS1_3gpuE3ELNS1_3repE0EEENS1_30default_config_static_selectorELNS0_4arch9wavefront6targetE0EEEvSY_,comdat
.Lfunc_end26:
	.size	_ZN7rocprim17ROCPRIM_400000_NS6detail17trampoline_kernelINS0_14default_configENS1_22reduce_config_selectorIN6thrust23THRUST_200600_302600_NS5tupleIbffNS6_9null_typeES8_S8_S8_S8_S8_S8_EEEEZNS1_11reduce_implILb1ES3_NS6_11hip_rocprim26transform_input_iterator_tIS9_NS6_12zip_iteratorINS7_INS6_17counting_iteratorIiNS6_11use_defaultESG_SG_EENS6_6detail15normal_iteratorINS6_10device_ptrIfEEEES8_S8_S8_S8_S8_S8_S8_S8_EEEE15transform_tupleIifEEEPS9_S9_12reduce_tupleIifEEE10hipError_tPvRmT1_T2_T3_mT4_P12ihipStream_tbEUlT_E0_NS1_11comp_targetILNS1_3genE9ELNS1_11target_archE1100ELNS1_3gpuE3ELNS1_3repE0EEENS1_30default_config_static_selectorELNS0_4arch9wavefront6targetE0EEEvSY_, .Lfunc_end26-_ZN7rocprim17ROCPRIM_400000_NS6detail17trampoline_kernelINS0_14default_configENS1_22reduce_config_selectorIN6thrust23THRUST_200600_302600_NS5tupleIbffNS6_9null_typeES8_S8_S8_S8_S8_S8_EEEEZNS1_11reduce_implILb1ES3_NS6_11hip_rocprim26transform_input_iterator_tIS9_NS6_12zip_iteratorINS7_INS6_17counting_iteratorIiNS6_11use_defaultESG_SG_EENS6_6detail15normal_iteratorINS6_10device_ptrIfEEEES8_S8_S8_S8_S8_S8_S8_S8_EEEE15transform_tupleIifEEEPS9_S9_12reduce_tupleIifEEE10hipError_tPvRmT1_T2_T3_mT4_P12ihipStream_tbEUlT_E0_NS1_11comp_targetILNS1_3genE9ELNS1_11target_archE1100ELNS1_3gpuE3ELNS1_3repE0EEENS1_30default_config_static_selectorELNS0_4arch9wavefront6targetE0EEEvSY_
                                        ; -- End function
	.section	.AMDGPU.csdata,"",@progbits
; Kernel info:
; codeLenInByte = 5512
; NumSgprs: 26
; NumVgprs: 16
; ScratchSize: 0
; MemoryBound: 0
; FloatMode: 240
; IeeeMode: 1
; LDSByteSize: 192 bytes/workgroup (compile time only)
; SGPRBlocks: 3
; VGPRBlocks: 1
; NumSGPRsForWavesPerEU: 26
; NumVGPRsForWavesPerEU: 16
; Occupancy: 16
; WaveLimiterHint : 1
; COMPUTE_PGM_RSRC2:SCRATCH_EN: 0
; COMPUTE_PGM_RSRC2:USER_SGPR: 15
; COMPUTE_PGM_RSRC2:TRAP_HANDLER: 0
; COMPUTE_PGM_RSRC2:TGID_X_EN: 1
; COMPUTE_PGM_RSRC2:TGID_Y_EN: 0
; COMPUTE_PGM_RSRC2:TGID_Z_EN: 0
; COMPUTE_PGM_RSRC2:TIDIG_COMP_CNT: 0
	.section	.text._ZN7rocprim17ROCPRIM_400000_NS6detail17trampoline_kernelINS0_14default_configENS1_22reduce_config_selectorIN6thrust23THRUST_200600_302600_NS5tupleIbffNS6_9null_typeES8_S8_S8_S8_S8_S8_EEEEZNS1_11reduce_implILb1ES3_NS6_11hip_rocprim26transform_input_iterator_tIS9_NS6_12zip_iteratorINS7_INS6_17counting_iteratorIiNS6_11use_defaultESG_SG_EENS6_6detail15normal_iteratorINS6_10device_ptrIfEEEES8_S8_S8_S8_S8_S8_S8_S8_EEEE15transform_tupleIifEEEPS9_S9_12reduce_tupleIifEEE10hipError_tPvRmT1_T2_T3_mT4_P12ihipStream_tbEUlT_E0_NS1_11comp_targetILNS1_3genE8ELNS1_11target_archE1030ELNS1_3gpuE2ELNS1_3repE0EEENS1_30default_config_static_selectorELNS0_4arch9wavefront6targetE0EEEvSY_,"axG",@progbits,_ZN7rocprim17ROCPRIM_400000_NS6detail17trampoline_kernelINS0_14default_configENS1_22reduce_config_selectorIN6thrust23THRUST_200600_302600_NS5tupleIbffNS6_9null_typeES8_S8_S8_S8_S8_S8_EEEEZNS1_11reduce_implILb1ES3_NS6_11hip_rocprim26transform_input_iterator_tIS9_NS6_12zip_iteratorINS7_INS6_17counting_iteratorIiNS6_11use_defaultESG_SG_EENS6_6detail15normal_iteratorINS6_10device_ptrIfEEEES8_S8_S8_S8_S8_S8_S8_S8_EEEE15transform_tupleIifEEEPS9_S9_12reduce_tupleIifEEE10hipError_tPvRmT1_T2_T3_mT4_P12ihipStream_tbEUlT_E0_NS1_11comp_targetILNS1_3genE8ELNS1_11target_archE1030ELNS1_3gpuE2ELNS1_3repE0EEENS1_30default_config_static_selectorELNS0_4arch9wavefront6targetE0EEEvSY_,comdat
	.protected	_ZN7rocprim17ROCPRIM_400000_NS6detail17trampoline_kernelINS0_14default_configENS1_22reduce_config_selectorIN6thrust23THRUST_200600_302600_NS5tupleIbffNS6_9null_typeES8_S8_S8_S8_S8_S8_EEEEZNS1_11reduce_implILb1ES3_NS6_11hip_rocprim26transform_input_iterator_tIS9_NS6_12zip_iteratorINS7_INS6_17counting_iteratorIiNS6_11use_defaultESG_SG_EENS6_6detail15normal_iteratorINS6_10device_ptrIfEEEES8_S8_S8_S8_S8_S8_S8_S8_EEEE15transform_tupleIifEEEPS9_S9_12reduce_tupleIifEEE10hipError_tPvRmT1_T2_T3_mT4_P12ihipStream_tbEUlT_E0_NS1_11comp_targetILNS1_3genE8ELNS1_11target_archE1030ELNS1_3gpuE2ELNS1_3repE0EEENS1_30default_config_static_selectorELNS0_4arch9wavefront6targetE0EEEvSY_ ; -- Begin function _ZN7rocprim17ROCPRIM_400000_NS6detail17trampoline_kernelINS0_14default_configENS1_22reduce_config_selectorIN6thrust23THRUST_200600_302600_NS5tupleIbffNS6_9null_typeES8_S8_S8_S8_S8_S8_EEEEZNS1_11reduce_implILb1ES3_NS6_11hip_rocprim26transform_input_iterator_tIS9_NS6_12zip_iteratorINS7_INS6_17counting_iteratorIiNS6_11use_defaultESG_SG_EENS6_6detail15normal_iteratorINS6_10device_ptrIfEEEES8_S8_S8_S8_S8_S8_S8_S8_EEEE15transform_tupleIifEEEPS9_S9_12reduce_tupleIifEEE10hipError_tPvRmT1_T2_T3_mT4_P12ihipStream_tbEUlT_E0_NS1_11comp_targetILNS1_3genE8ELNS1_11target_archE1030ELNS1_3gpuE2ELNS1_3repE0EEENS1_30default_config_static_selectorELNS0_4arch9wavefront6targetE0EEEvSY_
	.globl	_ZN7rocprim17ROCPRIM_400000_NS6detail17trampoline_kernelINS0_14default_configENS1_22reduce_config_selectorIN6thrust23THRUST_200600_302600_NS5tupleIbffNS6_9null_typeES8_S8_S8_S8_S8_S8_EEEEZNS1_11reduce_implILb1ES3_NS6_11hip_rocprim26transform_input_iterator_tIS9_NS6_12zip_iteratorINS7_INS6_17counting_iteratorIiNS6_11use_defaultESG_SG_EENS6_6detail15normal_iteratorINS6_10device_ptrIfEEEES8_S8_S8_S8_S8_S8_S8_S8_EEEE15transform_tupleIifEEEPS9_S9_12reduce_tupleIifEEE10hipError_tPvRmT1_T2_T3_mT4_P12ihipStream_tbEUlT_E0_NS1_11comp_targetILNS1_3genE8ELNS1_11target_archE1030ELNS1_3gpuE2ELNS1_3repE0EEENS1_30default_config_static_selectorELNS0_4arch9wavefront6targetE0EEEvSY_
	.p2align	8
	.type	_ZN7rocprim17ROCPRIM_400000_NS6detail17trampoline_kernelINS0_14default_configENS1_22reduce_config_selectorIN6thrust23THRUST_200600_302600_NS5tupleIbffNS6_9null_typeES8_S8_S8_S8_S8_S8_EEEEZNS1_11reduce_implILb1ES3_NS6_11hip_rocprim26transform_input_iterator_tIS9_NS6_12zip_iteratorINS7_INS6_17counting_iteratorIiNS6_11use_defaultESG_SG_EENS6_6detail15normal_iteratorINS6_10device_ptrIfEEEES8_S8_S8_S8_S8_S8_S8_S8_EEEE15transform_tupleIifEEEPS9_S9_12reduce_tupleIifEEE10hipError_tPvRmT1_T2_T3_mT4_P12ihipStream_tbEUlT_E0_NS1_11comp_targetILNS1_3genE8ELNS1_11target_archE1030ELNS1_3gpuE2ELNS1_3repE0EEENS1_30default_config_static_selectorELNS0_4arch9wavefront6targetE0EEEvSY_,@function
_ZN7rocprim17ROCPRIM_400000_NS6detail17trampoline_kernelINS0_14default_configENS1_22reduce_config_selectorIN6thrust23THRUST_200600_302600_NS5tupleIbffNS6_9null_typeES8_S8_S8_S8_S8_S8_EEEEZNS1_11reduce_implILb1ES3_NS6_11hip_rocprim26transform_input_iterator_tIS9_NS6_12zip_iteratorINS7_INS6_17counting_iteratorIiNS6_11use_defaultESG_SG_EENS6_6detail15normal_iteratorINS6_10device_ptrIfEEEES8_S8_S8_S8_S8_S8_S8_S8_EEEE15transform_tupleIifEEEPS9_S9_12reduce_tupleIifEEE10hipError_tPvRmT1_T2_T3_mT4_P12ihipStream_tbEUlT_E0_NS1_11comp_targetILNS1_3genE8ELNS1_11target_archE1030ELNS1_3gpuE2ELNS1_3repE0EEENS1_30default_config_static_selectorELNS0_4arch9wavefront6targetE0EEEvSY_: ; @_ZN7rocprim17ROCPRIM_400000_NS6detail17trampoline_kernelINS0_14default_configENS1_22reduce_config_selectorIN6thrust23THRUST_200600_302600_NS5tupleIbffNS6_9null_typeES8_S8_S8_S8_S8_S8_EEEEZNS1_11reduce_implILb1ES3_NS6_11hip_rocprim26transform_input_iterator_tIS9_NS6_12zip_iteratorINS7_INS6_17counting_iteratorIiNS6_11use_defaultESG_SG_EENS6_6detail15normal_iteratorINS6_10device_ptrIfEEEES8_S8_S8_S8_S8_S8_S8_S8_EEEE15transform_tupleIifEEEPS9_S9_12reduce_tupleIifEEE10hipError_tPvRmT1_T2_T3_mT4_P12ihipStream_tbEUlT_E0_NS1_11comp_targetILNS1_3genE8ELNS1_11target_archE1030ELNS1_3gpuE2ELNS1_3repE0EEENS1_30default_config_static_selectorELNS0_4arch9wavefront6targetE0EEEvSY_
; %bb.0:
	.section	.rodata,"a",@progbits
	.p2align	6, 0x0
	.amdhsa_kernel _ZN7rocprim17ROCPRIM_400000_NS6detail17trampoline_kernelINS0_14default_configENS1_22reduce_config_selectorIN6thrust23THRUST_200600_302600_NS5tupleIbffNS6_9null_typeES8_S8_S8_S8_S8_S8_EEEEZNS1_11reduce_implILb1ES3_NS6_11hip_rocprim26transform_input_iterator_tIS9_NS6_12zip_iteratorINS7_INS6_17counting_iteratorIiNS6_11use_defaultESG_SG_EENS6_6detail15normal_iteratorINS6_10device_ptrIfEEEES8_S8_S8_S8_S8_S8_S8_S8_EEEE15transform_tupleIifEEEPS9_S9_12reduce_tupleIifEEE10hipError_tPvRmT1_T2_T3_mT4_P12ihipStream_tbEUlT_E0_NS1_11comp_targetILNS1_3genE8ELNS1_11target_archE1030ELNS1_3gpuE2ELNS1_3repE0EEENS1_30default_config_static_selectorELNS0_4arch9wavefront6targetE0EEEvSY_
		.amdhsa_group_segment_fixed_size 0
		.amdhsa_private_segment_fixed_size 0
		.amdhsa_kernarg_size 80
		.amdhsa_user_sgpr_count 15
		.amdhsa_user_sgpr_dispatch_ptr 0
		.amdhsa_user_sgpr_queue_ptr 0
		.amdhsa_user_sgpr_kernarg_segment_ptr 1
		.amdhsa_user_sgpr_dispatch_id 0
		.amdhsa_user_sgpr_private_segment_size 0
		.amdhsa_wavefront_size32 1
		.amdhsa_uses_dynamic_stack 0
		.amdhsa_enable_private_segment 0
		.amdhsa_system_sgpr_workgroup_id_x 1
		.amdhsa_system_sgpr_workgroup_id_y 0
		.amdhsa_system_sgpr_workgroup_id_z 0
		.amdhsa_system_sgpr_workgroup_info 0
		.amdhsa_system_vgpr_workitem_id 0
		.amdhsa_next_free_vgpr 1
		.amdhsa_next_free_sgpr 1
		.amdhsa_reserve_vcc 0
		.amdhsa_float_round_mode_32 0
		.amdhsa_float_round_mode_16_64 0
		.amdhsa_float_denorm_mode_32 3
		.amdhsa_float_denorm_mode_16_64 3
		.amdhsa_dx10_clamp 1
		.amdhsa_ieee_mode 1
		.amdhsa_fp16_overflow 0
		.amdhsa_workgroup_processor_mode 1
		.amdhsa_memory_ordered 1
		.amdhsa_forward_progress 0
		.amdhsa_shared_vgpr_count 0
		.amdhsa_exception_fp_ieee_invalid_op 0
		.amdhsa_exception_fp_denorm_src 0
		.amdhsa_exception_fp_ieee_div_zero 0
		.amdhsa_exception_fp_ieee_overflow 0
		.amdhsa_exception_fp_ieee_underflow 0
		.amdhsa_exception_fp_ieee_inexact 0
		.amdhsa_exception_int_div_zero 0
	.end_amdhsa_kernel
	.section	.text._ZN7rocprim17ROCPRIM_400000_NS6detail17trampoline_kernelINS0_14default_configENS1_22reduce_config_selectorIN6thrust23THRUST_200600_302600_NS5tupleIbffNS6_9null_typeES8_S8_S8_S8_S8_S8_EEEEZNS1_11reduce_implILb1ES3_NS6_11hip_rocprim26transform_input_iterator_tIS9_NS6_12zip_iteratorINS7_INS6_17counting_iteratorIiNS6_11use_defaultESG_SG_EENS6_6detail15normal_iteratorINS6_10device_ptrIfEEEES8_S8_S8_S8_S8_S8_S8_S8_EEEE15transform_tupleIifEEEPS9_S9_12reduce_tupleIifEEE10hipError_tPvRmT1_T2_T3_mT4_P12ihipStream_tbEUlT_E0_NS1_11comp_targetILNS1_3genE8ELNS1_11target_archE1030ELNS1_3gpuE2ELNS1_3repE0EEENS1_30default_config_static_selectorELNS0_4arch9wavefront6targetE0EEEvSY_,"axG",@progbits,_ZN7rocprim17ROCPRIM_400000_NS6detail17trampoline_kernelINS0_14default_configENS1_22reduce_config_selectorIN6thrust23THRUST_200600_302600_NS5tupleIbffNS6_9null_typeES8_S8_S8_S8_S8_S8_EEEEZNS1_11reduce_implILb1ES3_NS6_11hip_rocprim26transform_input_iterator_tIS9_NS6_12zip_iteratorINS7_INS6_17counting_iteratorIiNS6_11use_defaultESG_SG_EENS6_6detail15normal_iteratorINS6_10device_ptrIfEEEES8_S8_S8_S8_S8_S8_S8_S8_EEEE15transform_tupleIifEEEPS9_S9_12reduce_tupleIifEEE10hipError_tPvRmT1_T2_T3_mT4_P12ihipStream_tbEUlT_E0_NS1_11comp_targetILNS1_3genE8ELNS1_11target_archE1030ELNS1_3gpuE2ELNS1_3repE0EEENS1_30default_config_static_selectorELNS0_4arch9wavefront6targetE0EEEvSY_,comdat
.Lfunc_end27:
	.size	_ZN7rocprim17ROCPRIM_400000_NS6detail17trampoline_kernelINS0_14default_configENS1_22reduce_config_selectorIN6thrust23THRUST_200600_302600_NS5tupleIbffNS6_9null_typeES8_S8_S8_S8_S8_S8_EEEEZNS1_11reduce_implILb1ES3_NS6_11hip_rocprim26transform_input_iterator_tIS9_NS6_12zip_iteratorINS7_INS6_17counting_iteratorIiNS6_11use_defaultESG_SG_EENS6_6detail15normal_iteratorINS6_10device_ptrIfEEEES8_S8_S8_S8_S8_S8_S8_S8_EEEE15transform_tupleIifEEEPS9_S9_12reduce_tupleIifEEE10hipError_tPvRmT1_T2_T3_mT4_P12ihipStream_tbEUlT_E0_NS1_11comp_targetILNS1_3genE8ELNS1_11target_archE1030ELNS1_3gpuE2ELNS1_3repE0EEENS1_30default_config_static_selectorELNS0_4arch9wavefront6targetE0EEEvSY_, .Lfunc_end27-_ZN7rocprim17ROCPRIM_400000_NS6detail17trampoline_kernelINS0_14default_configENS1_22reduce_config_selectorIN6thrust23THRUST_200600_302600_NS5tupleIbffNS6_9null_typeES8_S8_S8_S8_S8_S8_EEEEZNS1_11reduce_implILb1ES3_NS6_11hip_rocprim26transform_input_iterator_tIS9_NS6_12zip_iteratorINS7_INS6_17counting_iteratorIiNS6_11use_defaultESG_SG_EENS6_6detail15normal_iteratorINS6_10device_ptrIfEEEES8_S8_S8_S8_S8_S8_S8_S8_EEEE15transform_tupleIifEEEPS9_S9_12reduce_tupleIifEEE10hipError_tPvRmT1_T2_T3_mT4_P12ihipStream_tbEUlT_E0_NS1_11comp_targetILNS1_3genE8ELNS1_11target_archE1030ELNS1_3gpuE2ELNS1_3repE0EEENS1_30default_config_static_selectorELNS0_4arch9wavefront6targetE0EEEvSY_
                                        ; -- End function
	.section	.AMDGPU.csdata,"",@progbits
; Kernel info:
; codeLenInByte = 0
; NumSgprs: 0
; NumVgprs: 0
; ScratchSize: 0
; MemoryBound: 0
; FloatMode: 240
; IeeeMode: 1
; LDSByteSize: 0 bytes/workgroup (compile time only)
; SGPRBlocks: 0
; VGPRBlocks: 0
; NumSGPRsForWavesPerEU: 1
; NumVGPRsForWavesPerEU: 1
; Occupancy: 16
; WaveLimiterHint : 0
; COMPUTE_PGM_RSRC2:SCRATCH_EN: 0
; COMPUTE_PGM_RSRC2:USER_SGPR: 15
; COMPUTE_PGM_RSRC2:TRAP_HANDLER: 0
; COMPUTE_PGM_RSRC2:TGID_X_EN: 1
; COMPUTE_PGM_RSRC2:TGID_Y_EN: 0
; COMPUTE_PGM_RSRC2:TGID_Z_EN: 0
; COMPUTE_PGM_RSRC2:TIDIG_COMP_CNT: 0
	.section	.text._ZN7rocprim17ROCPRIM_400000_NS6detail17trampoline_kernelINS0_14default_configENS1_22reduce_config_selectorIN6thrust23THRUST_200600_302600_NS5tupleIbffNS6_9null_typeES8_S8_S8_S8_S8_S8_EEEEZNS1_11reduce_implILb1ES3_NS6_11hip_rocprim26transform_input_iterator_tIS9_NS6_12zip_iteratorINS7_INS6_17counting_iteratorIiNS6_11use_defaultESG_SG_EENS6_6detail15normal_iteratorINS6_10device_ptrIfEEEES8_S8_S8_S8_S8_S8_S8_S8_EEEE15transform_tupleIifEEEPS9_S9_12reduce_tupleIifEEE10hipError_tPvRmT1_T2_T3_mT4_P12ihipStream_tbEUlT_E1_NS1_11comp_targetILNS1_3genE0ELNS1_11target_archE4294967295ELNS1_3gpuE0ELNS1_3repE0EEENS1_30default_config_static_selectorELNS0_4arch9wavefront6targetE0EEEvSY_,"axG",@progbits,_ZN7rocprim17ROCPRIM_400000_NS6detail17trampoline_kernelINS0_14default_configENS1_22reduce_config_selectorIN6thrust23THRUST_200600_302600_NS5tupleIbffNS6_9null_typeES8_S8_S8_S8_S8_S8_EEEEZNS1_11reduce_implILb1ES3_NS6_11hip_rocprim26transform_input_iterator_tIS9_NS6_12zip_iteratorINS7_INS6_17counting_iteratorIiNS6_11use_defaultESG_SG_EENS6_6detail15normal_iteratorINS6_10device_ptrIfEEEES8_S8_S8_S8_S8_S8_S8_S8_EEEE15transform_tupleIifEEEPS9_S9_12reduce_tupleIifEEE10hipError_tPvRmT1_T2_T3_mT4_P12ihipStream_tbEUlT_E1_NS1_11comp_targetILNS1_3genE0ELNS1_11target_archE4294967295ELNS1_3gpuE0ELNS1_3repE0EEENS1_30default_config_static_selectorELNS0_4arch9wavefront6targetE0EEEvSY_,comdat
	.protected	_ZN7rocprim17ROCPRIM_400000_NS6detail17trampoline_kernelINS0_14default_configENS1_22reduce_config_selectorIN6thrust23THRUST_200600_302600_NS5tupleIbffNS6_9null_typeES8_S8_S8_S8_S8_S8_EEEEZNS1_11reduce_implILb1ES3_NS6_11hip_rocprim26transform_input_iterator_tIS9_NS6_12zip_iteratorINS7_INS6_17counting_iteratorIiNS6_11use_defaultESG_SG_EENS6_6detail15normal_iteratorINS6_10device_ptrIfEEEES8_S8_S8_S8_S8_S8_S8_S8_EEEE15transform_tupleIifEEEPS9_S9_12reduce_tupleIifEEE10hipError_tPvRmT1_T2_T3_mT4_P12ihipStream_tbEUlT_E1_NS1_11comp_targetILNS1_3genE0ELNS1_11target_archE4294967295ELNS1_3gpuE0ELNS1_3repE0EEENS1_30default_config_static_selectorELNS0_4arch9wavefront6targetE0EEEvSY_ ; -- Begin function _ZN7rocprim17ROCPRIM_400000_NS6detail17trampoline_kernelINS0_14default_configENS1_22reduce_config_selectorIN6thrust23THRUST_200600_302600_NS5tupleIbffNS6_9null_typeES8_S8_S8_S8_S8_S8_EEEEZNS1_11reduce_implILb1ES3_NS6_11hip_rocprim26transform_input_iterator_tIS9_NS6_12zip_iteratorINS7_INS6_17counting_iteratorIiNS6_11use_defaultESG_SG_EENS6_6detail15normal_iteratorINS6_10device_ptrIfEEEES8_S8_S8_S8_S8_S8_S8_S8_EEEE15transform_tupleIifEEEPS9_S9_12reduce_tupleIifEEE10hipError_tPvRmT1_T2_T3_mT4_P12ihipStream_tbEUlT_E1_NS1_11comp_targetILNS1_3genE0ELNS1_11target_archE4294967295ELNS1_3gpuE0ELNS1_3repE0EEENS1_30default_config_static_selectorELNS0_4arch9wavefront6targetE0EEEvSY_
	.globl	_ZN7rocprim17ROCPRIM_400000_NS6detail17trampoline_kernelINS0_14default_configENS1_22reduce_config_selectorIN6thrust23THRUST_200600_302600_NS5tupleIbffNS6_9null_typeES8_S8_S8_S8_S8_S8_EEEEZNS1_11reduce_implILb1ES3_NS6_11hip_rocprim26transform_input_iterator_tIS9_NS6_12zip_iteratorINS7_INS6_17counting_iteratorIiNS6_11use_defaultESG_SG_EENS6_6detail15normal_iteratorINS6_10device_ptrIfEEEES8_S8_S8_S8_S8_S8_S8_S8_EEEE15transform_tupleIifEEEPS9_S9_12reduce_tupleIifEEE10hipError_tPvRmT1_T2_T3_mT4_P12ihipStream_tbEUlT_E1_NS1_11comp_targetILNS1_3genE0ELNS1_11target_archE4294967295ELNS1_3gpuE0ELNS1_3repE0EEENS1_30default_config_static_selectorELNS0_4arch9wavefront6targetE0EEEvSY_
	.p2align	8
	.type	_ZN7rocprim17ROCPRIM_400000_NS6detail17trampoline_kernelINS0_14default_configENS1_22reduce_config_selectorIN6thrust23THRUST_200600_302600_NS5tupleIbffNS6_9null_typeES8_S8_S8_S8_S8_S8_EEEEZNS1_11reduce_implILb1ES3_NS6_11hip_rocprim26transform_input_iterator_tIS9_NS6_12zip_iteratorINS7_INS6_17counting_iteratorIiNS6_11use_defaultESG_SG_EENS6_6detail15normal_iteratorINS6_10device_ptrIfEEEES8_S8_S8_S8_S8_S8_S8_S8_EEEE15transform_tupleIifEEEPS9_S9_12reduce_tupleIifEEE10hipError_tPvRmT1_T2_T3_mT4_P12ihipStream_tbEUlT_E1_NS1_11comp_targetILNS1_3genE0ELNS1_11target_archE4294967295ELNS1_3gpuE0ELNS1_3repE0EEENS1_30default_config_static_selectorELNS0_4arch9wavefront6targetE0EEEvSY_,@function
_ZN7rocprim17ROCPRIM_400000_NS6detail17trampoline_kernelINS0_14default_configENS1_22reduce_config_selectorIN6thrust23THRUST_200600_302600_NS5tupleIbffNS6_9null_typeES8_S8_S8_S8_S8_S8_EEEEZNS1_11reduce_implILb1ES3_NS6_11hip_rocprim26transform_input_iterator_tIS9_NS6_12zip_iteratorINS7_INS6_17counting_iteratorIiNS6_11use_defaultESG_SG_EENS6_6detail15normal_iteratorINS6_10device_ptrIfEEEES8_S8_S8_S8_S8_S8_S8_S8_EEEE15transform_tupleIifEEEPS9_S9_12reduce_tupleIifEEE10hipError_tPvRmT1_T2_T3_mT4_P12ihipStream_tbEUlT_E1_NS1_11comp_targetILNS1_3genE0ELNS1_11target_archE4294967295ELNS1_3gpuE0ELNS1_3repE0EEENS1_30default_config_static_selectorELNS0_4arch9wavefront6targetE0EEEvSY_: ; @_ZN7rocprim17ROCPRIM_400000_NS6detail17trampoline_kernelINS0_14default_configENS1_22reduce_config_selectorIN6thrust23THRUST_200600_302600_NS5tupleIbffNS6_9null_typeES8_S8_S8_S8_S8_S8_EEEEZNS1_11reduce_implILb1ES3_NS6_11hip_rocprim26transform_input_iterator_tIS9_NS6_12zip_iteratorINS7_INS6_17counting_iteratorIiNS6_11use_defaultESG_SG_EENS6_6detail15normal_iteratorINS6_10device_ptrIfEEEES8_S8_S8_S8_S8_S8_S8_S8_EEEE15transform_tupleIifEEEPS9_S9_12reduce_tupleIifEEE10hipError_tPvRmT1_T2_T3_mT4_P12ihipStream_tbEUlT_E1_NS1_11comp_targetILNS1_3genE0ELNS1_11target_archE4294967295ELNS1_3gpuE0ELNS1_3repE0EEENS1_30default_config_static_selectorELNS0_4arch9wavefront6targetE0EEEvSY_
; %bb.0:
	.section	.rodata,"a",@progbits
	.p2align	6, 0x0
	.amdhsa_kernel _ZN7rocprim17ROCPRIM_400000_NS6detail17trampoline_kernelINS0_14default_configENS1_22reduce_config_selectorIN6thrust23THRUST_200600_302600_NS5tupleIbffNS6_9null_typeES8_S8_S8_S8_S8_S8_EEEEZNS1_11reduce_implILb1ES3_NS6_11hip_rocprim26transform_input_iterator_tIS9_NS6_12zip_iteratorINS7_INS6_17counting_iteratorIiNS6_11use_defaultESG_SG_EENS6_6detail15normal_iteratorINS6_10device_ptrIfEEEES8_S8_S8_S8_S8_S8_S8_S8_EEEE15transform_tupleIifEEEPS9_S9_12reduce_tupleIifEEE10hipError_tPvRmT1_T2_T3_mT4_P12ihipStream_tbEUlT_E1_NS1_11comp_targetILNS1_3genE0ELNS1_11target_archE4294967295ELNS1_3gpuE0ELNS1_3repE0EEENS1_30default_config_static_selectorELNS0_4arch9wavefront6targetE0EEEvSY_
		.amdhsa_group_segment_fixed_size 0
		.amdhsa_private_segment_fixed_size 0
		.amdhsa_kernarg_size 64
		.amdhsa_user_sgpr_count 15
		.amdhsa_user_sgpr_dispatch_ptr 0
		.amdhsa_user_sgpr_queue_ptr 0
		.amdhsa_user_sgpr_kernarg_segment_ptr 1
		.amdhsa_user_sgpr_dispatch_id 0
		.amdhsa_user_sgpr_private_segment_size 0
		.amdhsa_wavefront_size32 1
		.amdhsa_uses_dynamic_stack 0
		.amdhsa_enable_private_segment 0
		.amdhsa_system_sgpr_workgroup_id_x 1
		.amdhsa_system_sgpr_workgroup_id_y 0
		.amdhsa_system_sgpr_workgroup_id_z 0
		.amdhsa_system_sgpr_workgroup_info 0
		.amdhsa_system_vgpr_workitem_id 0
		.amdhsa_next_free_vgpr 1
		.amdhsa_next_free_sgpr 1
		.amdhsa_reserve_vcc 0
		.amdhsa_float_round_mode_32 0
		.amdhsa_float_round_mode_16_64 0
		.amdhsa_float_denorm_mode_32 3
		.amdhsa_float_denorm_mode_16_64 3
		.amdhsa_dx10_clamp 1
		.amdhsa_ieee_mode 1
		.amdhsa_fp16_overflow 0
		.amdhsa_workgroup_processor_mode 1
		.amdhsa_memory_ordered 1
		.amdhsa_forward_progress 0
		.amdhsa_shared_vgpr_count 0
		.amdhsa_exception_fp_ieee_invalid_op 0
		.amdhsa_exception_fp_denorm_src 0
		.amdhsa_exception_fp_ieee_div_zero 0
		.amdhsa_exception_fp_ieee_overflow 0
		.amdhsa_exception_fp_ieee_underflow 0
		.amdhsa_exception_fp_ieee_inexact 0
		.amdhsa_exception_int_div_zero 0
	.end_amdhsa_kernel
	.section	.text._ZN7rocprim17ROCPRIM_400000_NS6detail17trampoline_kernelINS0_14default_configENS1_22reduce_config_selectorIN6thrust23THRUST_200600_302600_NS5tupleIbffNS6_9null_typeES8_S8_S8_S8_S8_S8_EEEEZNS1_11reduce_implILb1ES3_NS6_11hip_rocprim26transform_input_iterator_tIS9_NS6_12zip_iteratorINS7_INS6_17counting_iteratorIiNS6_11use_defaultESG_SG_EENS6_6detail15normal_iteratorINS6_10device_ptrIfEEEES8_S8_S8_S8_S8_S8_S8_S8_EEEE15transform_tupleIifEEEPS9_S9_12reduce_tupleIifEEE10hipError_tPvRmT1_T2_T3_mT4_P12ihipStream_tbEUlT_E1_NS1_11comp_targetILNS1_3genE0ELNS1_11target_archE4294967295ELNS1_3gpuE0ELNS1_3repE0EEENS1_30default_config_static_selectorELNS0_4arch9wavefront6targetE0EEEvSY_,"axG",@progbits,_ZN7rocprim17ROCPRIM_400000_NS6detail17trampoline_kernelINS0_14default_configENS1_22reduce_config_selectorIN6thrust23THRUST_200600_302600_NS5tupleIbffNS6_9null_typeES8_S8_S8_S8_S8_S8_EEEEZNS1_11reduce_implILb1ES3_NS6_11hip_rocprim26transform_input_iterator_tIS9_NS6_12zip_iteratorINS7_INS6_17counting_iteratorIiNS6_11use_defaultESG_SG_EENS6_6detail15normal_iteratorINS6_10device_ptrIfEEEES8_S8_S8_S8_S8_S8_S8_S8_EEEE15transform_tupleIifEEEPS9_S9_12reduce_tupleIifEEE10hipError_tPvRmT1_T2_T3_mT4_P12ihipStream_tbEUlT_E1_NS1_11comp_targetILNS1_3genE0ELNS1_11target_archE4294967295ELNS1_3gpuE0ELNS1_3repE0EEENS1_30default_config_static_selectorELNS0_4arch9wavefront6targetE0EEEvSY_,comdat
.Lfunc_end28:
	.size	_ZN7rocprim17ROCPRIM_400000_NS6detail17trampoline_kernelINS0_14default_configENS1_22reduce_config_selectorIN6thrust23THRUST_200600_302600_NS5tupleIbffNS6_9null_typeES8_S8_S8_S8_S8_S8_EEEEZNS1_11reduce_implILb1ES3_NS6_11hip_rocprim26transform_input_iterator_tIS9_NS6_12zip_iteratorINS7_INS6_17counting_iteratorIiNS6_11use_defaultESG_SG_EENS6_6detail15normal_iteratorINS6_10device_ptrIfEEEES8_S8_S8_S8_S8_S8_S8_S8_EEEE15transform_tupleIifEEEPS9_S9_12reduce_tupleIifEEE10hipError_tPvRmT1_T2_T3_mT4_P12ihipStream_tbEUlT_E1_NS1_11comp_targetILNS1_3genE0ELNS1_11target_archE4294967295ELNS1_3gpuE0ELNS1_3repE0EEENS1_30default_config_static_selectorELNS0_4arch9wavefront6targetE0EEEvSY_, .Lfunc_end28-_ZN7rocprim17ROCPRIM_400000_NS6detail17trampoline_kernelINS0_14default_configENS1_22reduce_config_selectorIN6thrust23THRUST_200600_302600_NS5tupleIbffNS6_9null_typeES8_S8_S8_S8_S8_S8_EEEEZNS1_11reduce_implILb1ES3_NS6_11hip_rocprim26transform_input_iterator_tIS9_NS6_12zip_iteratorINS7_INS6_17counting_iteratorIiNS6_11use_defaultESG_SG_EENS6_6detail15normal_iteratorINS6_10device_ptrIfEEEES8_S8_S8_S8_S8_S8_S8_S8_EEEE15transform_tupleIifEEEPS9_S9_12reduce_tupleIifEEE10hipError_tPvRmT1_T2_T3_mT4_P12ihipStream_tbEUlT_E1_NS1_11comp_targetILNS1_3genE0ELNS1_11target_archE4294967295ELNS1_3gpuE0ELNS1_3repE0EEENS1_30default_config_static_selectorELNS0_4arch9wavefront6targetE0EEEvSY_
                                        ; -- End function
	.section	.AMDGPU.csdata,"",@progbits
; Kernel info:
; codeLenInByte = 0
; NumSgprs: 0
; NumVgprs: 0
; ScratchSize: 0
; MemoryBound: 0
; FloatMode: 240
; IeeeMode: 1
; LDSByteSize: 0 bytes/workgroup (compile time only)
; SGPRBlocks: 0
; VGPRBlocks: 0
; NumSGPRsForWavesPerEU: 1
; NumVGPRsForWavesPerEU: 1
; Occupancy: 16
; WaveLimiterHint : 0
; COMPUTE_PGM_RSRC2:SCRATCH_EN: 0
; COMPUTE_PGM_RSRC2:USER_SGPR: 15
; COMPUTE_PGM_RSRC2:TRAP_HANDLER: 0
; COMPUTE_PGM_RSRC2:TGID_X_EN: 1
; COMPUTE_PGM_RSRC2:TGID_Y_EN: 0
; COMPUTE_PGM_RSRC2:TGID_Z_EN: 0
; COMPUTE_PGM_RSRC2:TIDIG_COMP_CNT: 0
	.section	.text._ZN7rocprim17ROCPRIM_400000_NS6detail17trampoline_kernelINS0_14default_configENS1_22reduce_config_selectorIN6thrust23THRUST_200600_302600_NS5tupleIbffNS6_9null_typeES8_S8_S8_S8_S8_S8_EEEEZNS1_11reduce_implILb1ES3_NS6_11hip_rocprim26transform_input_iterator_tIS9_NS6_12zip_iteratorINS7_INS6_17counting_iteratorIiNS6_11use_defaultESG_SG_EENS6_6detail15normal_iteratorINS6_10device_ptrIfEEEES8_S8_S8_S8_S8_S8_S8_S8_EEEE15transform_tupleIifEEEPS9_S9_12reduce_tupleIifEEE10hipError_tPvRmT1_T2_T3_mT4_P12ihipStream_tbEUlT_E1_NS1_11comp_targetILNS1_3genE5ELNS1_11target_archE942ELNS1_3gpuE9ELNS1_3repE0EEENS1_30default_config_static_selectorELNS0_4arch9wavefront6targetE0EEEvSY_,"axG",@progbits,_ZN7rocprim17ROCPRIM_400000_NS6detail17trampoline_kernelINS0_14default_configENS1_22reduce_config_selectorIN6thrust23THRUST_200600_302600_NS5tupleIbffNS6_9null_typeES8_S8_S8_S8_S8_S8_EEEEZNS1_11reduce_implILb1ES3_NS6_11hip_rocprim26transform_input_iterator_tIS9_NS6_12zip_iteratorINS7_INS6_17counting_iteratorIiNS6_11use_defaultESG_SG_EENS6_6detail15normal_iteratorINS6_10device_ptrIfEEEES8_S8_S8_S8_S8_S8_S8_S8_EEEE15transform_tupleIifEEEPS9_S9_12reduce_tupleIifEEE10hipError_tPvRmT1_T2_T3_mT4_P12ihipStream_tbEUlT_E1_NS1_11comp_targetILNS1_3genE5ELNS1_11target_archE942ELNS1_3gpuE9ELNS1_3repE0EEENS1_30default_config_static_selectorELNS0_4arch9wavefront6targetE0EEEvSY_,comdat
	.protected	_ZN7rocprim17ROCPRIM_400000_NS6detail17trampoline_kernelINS0_14default_configENS1_22reduce_config_selectorIN6thrust23THRUST_200600_302600_NS5tupleIbffNS6_9null_typeES8_S8_S8_S8_S8_S8_EEEEZNS1_11reduce_implILb1ES3_NS6_11hip_rocprim26transform_input_iterator_tIS9_NS6_12zip_iteratorINS7_INS6_17counting_iteratorIiNS6_11use_defaultESG_SG_EENS6_6detail15normal_iteratorINS6_10device_ptrIfEEEES8_S8_S8_S8_S8_S8_S8_S8_EEEE15transform_tupleIifEEEPS9_S9_12reduce_tupleIifEEE10hipError_tPvRmT1_T2_T3_mT4_P12ihipStream_tbEUlT_E1_NS1_11comp_targetILNS1_3genE5ELNS1_11target_archE942ELNS1_3gpuE9ELNS1_3repE0EEENS1_30default_config_static_selectorELNS0_4arch9wavefront6targetE0EEEvSY_ ; -- Begin function _ZN7rocprim17ROCPRIM_400000_NS6detail17trampoline_kernelINS0_14default_configENS1_22reduce_config_selectorIN6thrust23THRUST_200600_302600_NS5tupleIbffNS6_9null_typeES8_S8_S8_S8_S8_S8_EEEEZNS1_11reduce_implILb1ES3_NS6_11hip_rocprim26transform_input_iterator_tIS9_NS6_12zip_iteratorINS7_INS6_17counting_iteratorIiNS6_11use_defaultESG_SG_EENS6_6detail15normal_iteratorINS6_10device_ptrIfEEEES8_S8_S8_S8_S8_S8_S8_S8_EEEE15transform_tupleIifEEEPS9_S9_12reduce_tupleIifEEE10hipError_tPvRmT1_T2_T3_mT4_P12ihipStream_tbEUlT_E1_NS1_11comp_targetILNS1_3genE5ELNS1_11target_archE942ELNS1_3gpuE9ELNS1_3repE0EEENS1_30default_config_static_selectorELNS0_4arch9wavefront6targetE0EEEvSY_
	.globl	_ZN7rocprim17ROCPRIM_400000_NS6detail17trampoline_kernelINS0_14default_configENS1_22reduce_config_selectorIN6thrust23THRUST_200600_302600_NS5tupleIbffNS6_9null_typeES8_S8_S8_S8_S8_S8_EEEEZNS1_11reduce_implILb1ES3_NS6_11hip_rocprim26transform_input_iterator_tIS9_NS6_12zip_iteratorINS7_INS6_17counting_iteratorIiNS6_11use_defaultESG_SG_EENS6_6detail15normal_iteratorINS6_10device_ptrIfEEEES8_S8_S8_S8_S8_S8_S8_S8_EEEE15transform_tupleIifEEEPS9_S9_12reduce_tupleIifEEE10hipError_tPvRmT1_T2_T3_mT4_P12ihipStream_tbEUlT_E1_NS1_11comp_targetILNS1_3genE5ELNS1_11target_archE942ELNS1_3gpuE9ELNS1_3repE0EEENS1_30default_config_static_selectorELNS0_4arch9wavefront6targetE0EEEvSY_
	.p2align	8
	.type	_ZN7rocprim17ROCPRIM_400000_NS6detail17trampoline_kernelINS0_14default_configENS1_22reduce_config_selectorIN6thrust23THRUST_200600_302600_NS5tupleIbffNS6_9null_typeES8_S8_S8_S8_S8_S8_EEEEZNS1_11reduce_implILb1ES3_NS6_11hip_rocprim26transform_input_iterator_tIS9_NS6_12zip_iteratorINS7_INS6_17counting_iteratorIiNS6_11use_defaultESG_SG_EENS6_6detail15normal_iteratorINS6_10device_ptrIfEEEES8_S8_S8_S8_S8_S8_S8_S8_EEEE15transform_tupleIifEEEPS9_S9_12reduce_tupleIifEEE10hipError_tPvRmT1_T2_T3_mT4_P12ihipStream_tbEUlT_E1_NS1_11comp_targetILNS1_3genE5ELNS1_11target_archE942ELNS1_3gpuE9ELNS1_3repE0EEENS1_30default_config_static_selectorELNS0_4arch9wavefront6targetE0EEEvSY_,@function
_ZN7rocprim17ROCPRIM_400000_NS6detail17trampoline_kernelINS0_14default_configENS1_22reduce_config_selectorIN6thrust23THRUST_200600_302600_NS5tupleIbffNS6_9null_typeES8_S8_S8_S8_S8_S8_EEEEZNS1_11reduce_implILb1ES3_NS6_11hip_rocprim26transform_input_iterator_tIS9_NS6_12zip_iteratorINS7_INS6_17counting_iteratorIiNS6_11use_defaultESG_SG_EENS6_6detail15normal_iteratorINS6_10device_ptrIfEEEES8_S8_S8_S8_S8_S8_S8_S8_EEEE15transform_tupleIifEEEPS9_S9_12reduce_tupleIifEEE10hipError_tPvRmT1_T2_T3_mT4_P12ihipStream_tbEUlT_E1_NS1_11comp_targetILNS1_3genE5ELNS1_11target_archE942ELNS1_3gpuE9ELNS1_3repE0EEENS1_30default_config_static_selectorELNS0_4arch9wavefront6targetE0EEEvSY_: ; @_ZN7rocprim17ROCPRIM_400000_NS6detail17trampoline_kernelINS0_14default_configENS1_22reduce_config_selectorIN6thrust23THRUST_200600_302600_NS5tupleIbffNS6_9null_typeES8_S8_S8_S8_S8_S8_EEEEZNS1_11reduce_implILb1ES3_NS6_11hip_rocprim26transform_input_iterator_tIS9_NS6_12zip_iteratorINS7_INS6_17counting_iteratorIiNS6_11use_defaultESG_SG_EENS6_6detail15normal_iteratorINS6_10device_ptrIfEEEES8_S8_S8_S8_S8_S8_S8_S8_EEEE15transform_tupleIifEEEPS9_S9_12reduce_tupleIifEEE10hipError_tPvRmT1_T2_T3_mT4_P12ihipStream_tbEUlT_E1_NS1_11comp_targetILNS1_3genE5ELNS1_11target_archE942ELNS1_3gpuE9ELNS1_3repE0EEENS1_30default_config_static_selectorELNS0_4arch9wavefront6targetE0EEEvSY_
; %bb.0:
	.section	.rodata,"a",@progbits
	.p2align	6, 0x0
	.amdhsa_kernel _ZN7rocprim17ROCPRIM_400000_NS6detail17trampoline_kernelINS0_14default_configENS1_22reduce_config_selectorIN6thrust23THRUST_200600_302600_NS5tupleIbffNS6_9null_typeES8_S8_S8_S8_S8_S8_EEEEZNS1_11reduce_implILb1ES3_NS6_11hip_rocprim26transform_input_iterator_tIS9_NS6_12zip_iteratorINS7_INS6_17counting_iteratorIiNS6_11use_defaultESG_SG_EENS6_6detail15normal_iteratorINS6_10device_ptrIfEEEES8_S8_S8_S8_S8_S8_S8_S8_EEEE15transform_tupleIifEEEPS9_S9_12reduce_tupleIifEEE10hipError_tPvRmT1_T2_T3_mT4_P12ihipStream_tbEUlT_E1_NS1_11comp_targetILNS1_3genE5ELNS1_11target_archE942ELNS1_3gpuE9ELNS1_3repE0EEENS1_30default_config_static_selectorELNS0_4arch9wavefront6targetE0EEEvSY_
		.amdhsa_group_segment_fixed_size 0
		.amdhsa_private_segment_fixed_size 0
		.amdhsa_kernarg_size 64
		.amdhsa_user_sgpr_count 15
		.amdhsa_user_sgpr_dispatch_ptr 0
		.amdhsa_user_sgpr_queue_ptr 0
		.amdhsa_user_sgpr_kernarg_segment_ptr 1
		.amdhsa_user_sgpr_dispatch_id 0
		.amdhsa_user_sgpr_private_segment_size 0
		.amdhsa_wavefront_size32 1
		.amdhsa_uses_dynamic_stack 0
		.amdhsa_enable_private_segment 0
		.amdhsa_system_sgpr_workgroup_id_x 1
		.amdhsa_system_sgpr_workgroup_id_y 0
		.amdhsa_system_sgpr_workgroup_id_z 0
		.amdhsa_system_sgpr_workgroup_info 0
		.amdhsa_system_vgpr_workitem_id 0
		.amdhsa_next_free_vgpr 1
		.amdhsa_next_free_sgpr 1
		.amdhsa_reserve_vcc 0
		.amdhsa_float_round_mode_32 0
		.amdhsa_float_round_mode_16_64 0
		.amdhsa_float_denorm_mode_32 3
		.amdhsa_float_denorm_mode_16_64 3
		.amdhsa_dx10_clamp 1
		.amdhsa_ieee_mode 1
		.amdhsa_fp16_overflow 0
		.amdhsa_workgroup_processor_mode 1
		.amdhsa_memory_ordered 1
		.amdhsa_forward_progress 0
		.amdhsa_shared_vgpr_count 0
		.amdhsa_exception_fp_ieee_invalid_op 0
		.amdhsa_exception_fp_denorm_src 0
		.amdhsa_exception_fp_ieee_div_zero 0
		.amdhsa_exception_fp_ieee_overflow 0
		.amdhsa_exception_fp_ieee_underflow 0
		.amdhsa_exception_fp_ieee_inexact 0
		.amdhsa_exception_int_div_zero 0
	.end_amdhsa_kernel
	.section	.text._ZN7rocprim17ROCPRIM_400000_NS6detail17trampoline_kernelINS0_14default_configENS1_22reduce_config_selectorIN6thrust23THRUST_200600_302600_NS5tupleIbffNS6_9null_typeES8_S8_S8_S8_S8_S8_EEEEZNS1_11reduce_implILb1ES3_NS6_11hip_rocprim26transform_input_iterator_tIS9_NS6_12zip_iteratorINS7_INS6_17counting_iteratorIiNS6_11use_defaultESG_SG_EENS6_6detail15normal_iteratorINS6_10device_ptrIfEEEES8_S8_S8_S8_S8_S8_S8_S8_EEEE15transform_tupleIifEEEPS9_S9_12reduce_tupleIifEEE10hipError_tPvRmT1_T2_T3_mT4_P12ihipStream_tbEUlT_E1_NS1_11comp_targetILNS1_3genE5ELNS1_11target_archE942ELNS1_3gpuE9ELNS1_3repE0EEENS1_30default_config_static_selectorELNS0_4arch9wavefront6targetE0EEEvSY_,"axG",@progbits,_ZN7rocprim17ROCPRIM_400000_NS6detail17trampoline_kernelINS0_14default_configENS1_22reduce_config_selectorIN6thrust23THRUST_200600_302600_NS5tupleIbffNS6_9null_typeES8_S8_S8_S8_S8_S8_EEEEZNS1_11reduce_implILb1ES3_NS6_11hip_rocprim26transform_input_iterator_tIS9_NS6_12zip_iteratorINS7_INS6_17counting_iteratorIiNS6_11use_defaultESG_SG_EENS6_6detail15normal_iteratorINS6_10device_ptrIfEEEES8_S8_S8_S8_S8_S8_S8_S8_EEEE15transform_tupleIifEEEPS9_S9_12reduce_tupleIifEEE10hipError_tPvRmT1_T2_T3_mT4_P12ihipStream_tbEUlT_E1_NS1_11comp_targetILNS1_3genE5ELNS1_11target_archE942ELNS1_3gpuE9ELNS1_3repE0EEENS1_30default_config_static_selectorELNS0_4arch9wavefront6targetE0EEEvSY_,comdat
.Lfunc_end29:
	.size	_ZN7rocprim17ROCPRIM_400000_NS6detail17trampoline_kernelINS0_14default_configENS1_22reduce_config_selectorIN6thrust23THRUST_200600_302600_NS5tupleIbffNS6_9null_typeES8_S8_S8_S8_S8_S8_EEEEZNS1_11reduce_implILb1ES3_NS6_11hip_rocprim26transform_input_iterator_tIS9_NS6_12zip_iteratorINS7_INS6_17counting_iteratorIiNS6_11use_defaultESG_SG_EENS6_6detail15normal_iteratorINS6_10device_ptrIfEEEES8_S8_S8_S8_S8_S8_S8_S8_EEEE15transform_tupleIifEEEPS9_S9_12reduce_tupleIifEEE10hipError_tPvRmT1_T2_T3_mT4_P12ihipStream_tbEUlT_E1_NS1_11comp_targetILNS1_3genE5ELNS1_11target_archE942ELNS1_3gpuE9ELNS1_3repE0EEENS1_30default_config_static_selectorELNS0_4arch9wavefront6targetE0EEEvSY_, .Lfunc_end29-_ZN7rocprim17ROCPRIM_400000_NS6detail17trampoline_kernelINS0_14default_configENS1_22reduce_config_selectorIN6thrust23THRUST_200600_302600_NS5tupleIbffNS6_9null_typeES8_S8_S8_S8_S8_S8_EEEEZNS1_11reduce_implILb1ES3_NS6_11hip_rocprim26transform_input_iterator_tIS9_NS6_12zip_iteratorINS7_INS6_17counting_iteratorIiNS6_11use_defaultESG_SG_EENS6_6detail15normal_iteratorINS6_10device_ptrIfEEEES8_S8_S8_S8_S8_S8_S8_S8_EEEE15transform_tupleIifEEEPS9_S9_12reduce_tupleIifEEE10hipError_tPvRmT1_T2_T3_mT4_P12ihipStream_tbEUlT_E1_NS1_11comp_targetILNS1_3genE5ELNS1_11target_archE942ELNS1_3gpuE9ELNS1_3repE0EEENS1_30default_config_static_selectorELNS0_4arch9wavefront6targetE0EEEvSY_
                                        ; -- End function
	.section	.AMDGPU.csdata,"",@progbits
; Kernel info:
; codeLenInByte = 0
; NumSgprs: 0
; NumVgprs: 0
; ScratchSize: 0
; MemoryBound: 0
; FloatMode: 240
; IeeeMode: 1
; LDSByteSize: 0 bytes/workgroup (compile time only)
; SGPRBlocks: 0
; VGPRBlocks: 0
; NumSGPRsForWavesPerEU: 1
; NumVGPRsForWavesPerEU: 1
; Occupancy: 16
; WaveLimiterHint : 0
; COMPUTE_PGM_RSRC2:SCRATCH_EN: 0
; COMPUTE_PGM_RSRC2:USER_SGPR: 15
; COMPUTE_PGM_RSRC2:TRAP_HANDLER: 0
; COMPUTE_PGM_RSRC2:TGID_X_EN: 1
; COMPUTE_PGM_RSRC2:TGID_Y_EN: 0
; COMPUTE_PGM_RSRC2:TGID_Z_EN: 0
; COMPUTE_PGM_RSRC2:TIDIG_COMP_CNT: 0
	.section	.text._ZN7rocprim17ROCPRIM_400000_NS6detail17trampoline_kernelINS0_14default_configENS1_22reduce_config_selectorIN6thrust23THRUST_200600_302600_NS5tupleIbffNS6_9null_typeES8_S8_S8_S8_S8_S8_EEEEZNS1_11reduce_implILb1ES3_NS6_11hip_rocprim26transform_input_iterator_tIS9_NS6_12zip_iteratorINS7_INS6_17counting_iteratorIiNS6_11use_defaultESG_SG_EENS6_6detail15normal_iteratorINS6_10device_ptrIfEEEES8_S8_S8_S8_S8_S8_S8_S8_EEEE15transform_tupleIifEEEPS9_S9_12reduce_tupleIifEEE10hipError_tPvRmT1_T2_T3_mT4_P12ihipStream_tbEUlT_E1_NS1_11comp_targetILNS1_3genE4ELNS1_11target_archE910ELNS1_3gpuE8ELNS1_3repE0EEENS1_30default_config_static_selectorELNS0_4arch9wavefront6targetE0EEEvSY_,"axG",@progbits,_ZN7rocprim17ROCPRIM_400000_NS6detail17trampoline_kernelINS0_14default_configENS1_22reduce_config_selectorIN6thrust23THRUST_200600_302600_NS5tupleIbffNS6_9null_typeES8_S8_S8_S8_S8_S8_EEEEZNS1_11reduce_implILb1ES3_NS6_11hip_rocprim26transform_input_iterator_tIS9_NS6_12zip_iteratorINS7_INS6_17counting_iteratorIiNS6_11use_defaultESG_SG_EENS6_6detail15normal_iteratorINS6_10device_ptrIfEEEES8_S8_S8_S8_S8_S8_S8_S8_EEEE15transform_tupleIifEEEPS9_S9_12reduce_tupleIifEEE10hipError_tPvRmT1_T2_T3_mT4_P12ihipStream_tbEUlT_E1_NS1_11comp_targetILNS1_3genE4ELNS1_11target_archE910ELNS1_3gpuE8ELNS1_3repE0EEENS1_30default_config_static_selectorELNS0_4arch9wavefront6targetE0EEEvSY_,comdat
	.protected	_ZN7rocprim17ROCPRIM_400000_NS6detail17trampoline_kernelINS0_14default_configENS1_22reduce_config_selectorIN6thrust23THRUST_200600_302600_NS5tupleIbffNS6_9null_typeES8_S8_S8_S8_S8_S8_EEEEZNS1_11reduce_implILb1ES3_NS6_11hip_rocprim26transform_input_iterator_tIS9_NS6_12zip_iteratorINS7_INS6_17counting_iteratorIiNS6_11use_defaultESG_SG_EENS6_6detail15normal_iteratorINS6_10device_ptrIfEEEES8_S8_S8_S8_S8_S8_S8_S8_EEEE15transform_tupleIifEEEPS9_S9_12reduce_tupleIifEEE10hipError_tPvRmT1_T2_T3_mT4_P12ihipStream_tbEUlT_E1_NS1_11comp_targetILNS1_3genE4ELNS1_11target_archE910ELNS1_3gpuE8ELNS1_3repE0EEENS1_30default_config_static_selectorELNS0_4arch9wavefront6targetE0EEEvSY_ ; -- Begin function _ZN7rocprim17ROCPRIM_400000_NS6detail17trampoline_kernelINS0_14default_configENS1_22reduce_config_selectorIN6thrust23THRUST_200600_302600_NS5tupleIbffNS6_9null_typeES8_S8_S8_S8_S8_S8_EEEEZNS1_11reduce_implILb1ES3_NS6_11hip_rocprim26transform_input_iterator_tIS9_NS6_12zip_iteratorINS7_INS6_17counting_iteratorIiNS6_11use_defaultESG_SG_EENS6_6detail15normal_iteratorINS6_10device_ptrIfEEEES8_S8_S8_S8_S8_S8_S8_S8_EEEE15transform_tupleIifEEEPS9_S9_12reduce_tupleIifEEE10hipError_tPvRmT1_T2_T3_mT4_P12ihipStream_tbEUlT_E1_NS1_11comp_targetILNS1_3genE4ELNS1_11target_archE910ELNS1_3gpuE8ELNS1_3repE0EEENS1_30default_config_static_selectorELNS0_4arch9wavefront6targetE0EEEvSY_
	.globl	_ZN7rocprim17ROCPRIM_400000_NS6detail17trampoline_kernelINS0_14default_configENS1_22reduce_config_selectorIN6thrust23THRUST_200600_302600_NS5tupleIbffNS6_9null_typeES8_S8_S8_S8_S8_S8_EEEEZNS1_11reduce_implILb1ES3_NS6_11hip_rocprim26transform_input_iterator_tIS9_NS6_12zip_iteratorINS7_INS6_17counting_iteratorIiNS6_11use_defaultESG_SG_EENS6_6detail15normal_iteratorINS6_10device_ptrIfEEEES8_S8_S8_S8_S8_S8_S8_S8_EEEE15transform_tupleIifEEEPS9_S9_12reduce_tupleIifEEE10hipError_tPvRmT1_T2_T3_mT4_P12ihipStream_tbEUlT_E1_NS1_11comp_targetILNS1_3genE4ELNS1_11target_archE910ELNS1_3gpuE8ELNS1_3repE0EEENS1_30default_config_static_selectorELNS0_4arch9wavefront6targetE0EEEvSY_
	.p2align	8
	.type	_ZN7rocprim17ROCPRIM_400000_NS6detail17trampoline_kernelINS0_14default_configENS1_22reduce_config_selectorIN6thrust23THRUST_200600_302600_NS5tupleIbffNS6_9null_typeES8_S8_S8_S8_S8_S8_EEEEZNS1_11reduce_implILb1ES3_NS6_11hip_rocprim26transform_input_iterator_tIS9_NS6_12zip_iteratorINS7_INS6_17counting_iteratorIiNS6_11use_defaultESG_SG_EENS6_6detail15normal_iteratorINS6_10device_ptrIfEEEES8_S8_S8_S8_S8_S8_S8_S8_EEEE15transform_tupleIifEEEPS9_S9_12reduce_tupleIifEEE10hipError_tPvRmT1_T2_T3_mT4_P12ihipStream_tbEUlT_E1_NS1_11comp_targetILNS1_3genE4ELNS1_11target_archE910ELNS1_3gpuE8ELNS1_3repE0EEENS1_30default_config_static_selectorELNS0_4arch9wavefront6targetE0EEEvSY_,@function
_ZN7rocprim17ROCPRIM_400000_NS6detail17trampoline_kernelINS0_14default_configENS1_22reduce_config_selectorIN6thrust23THRUST_200600_302600_NS5tupleIbffNS6_9null_typeES8_S8_S8_S8_S8_S8_EEEEZNS1_11reduce_implILb1ES3_NS6_11hip_rocprim26transform_input_iterator_tIS9_NS6_12zip_iteratorINS7_INS6_17counting_iteratorIiNS6_11use_defaultESG_SG_EENS6_6detail15normal_iteratorINS6_10device_ptrIfEEEES8_S8_S8_S8_S8_S8_S8_S8_EEEE15transform_tupleIifEEEPS9_S9_12reduce_tupleIifEEE10hipError_tPvRmT1_T2_T3_mT4_P12ihipStream_tbEUlT_E1_NS1_11comp_targetILNS1_3genE4ELNS1_11target_archE910ELNS1_3gpuE8ELNS1_3repE0EEENS1_30default_config_static_selectorELNS0_4arch9wavefront6targetE0EEEvSY_: ; @_ZN7rocprim17ROCPRIM_400000_NS6detail17trampoline_kernelINS0_14default_configENS1_22reduce_config_selectorIN6thrust23THRUST_200600_302600_NS5tupleIbffNS6_9null_typeES8_S8_S8_S8_S8_S8_EEEEZNS1_11reduce_implILb1ES3_NS6_11hip_rocprim26transform_input_iterator_tIS9_NS6_12zip_iteratorINS7_INS6_17counting_iteratorIiNS6_11use_defaultESG_SG_EENS6_6detail15normal_iteratorINS6_10device_ptrIfEEEES8_S8_S8_S8_S8_S8_S8_S8_EEEE15transform_tupleIifEEEPS9_S9_12reduce_tupleIifEEE10hipError_tPvRmT1_T2_T3_mT4_P12ihipStream_tbEUlT_E1_NS1_11comp_targetILNS1_3genE4ELNS1_11target_archE910ELNS1_3gpuE8ELNS1_3repE0EEENS1_30default_config_static_selectorELNS0_4arch9wavefront6targetE0EEEvSY_
; %bb.0:
	.section	.rodata,"a",@progbits
	.p2align	6, 0x0
	.amdhsa_kernel _ZN7rocprim17ROCPRIM_400000_NS6detail17trampoline_kernelINS0_14default_configENS1_22reduce_config_selectorIN6thrust23THRUST_200600_302600_NS5tupleIbffNS6_9null_typeES8_S8_S8_S8_S8_S8_EEEEZNS1_11reduce_implILb1ES3_NS6_11hip_rocprim26transform_input_iterator_tIS9_NS6_12zip_iteratorINS7_INS6_17counting_iteratorIiNS6_11use_defaultESG_SG_EENS6_6detail15normal_iteratorINS6_10device_ptrIfEEEES8_S8_S8_S8_S8_S8_S8_S8_EEEE15transform_tupleIifEEEPS9_S9_12reduce_tupleIifEEE10hipError_tPvRmT1_T2_T3_mT4_P12ihipStream_tbEUlT_E1_NS1_11comp_targetILNS1_3genE4ELNS1_11target_archE910ELNS1_3gpuE8ELNS1_3repE0EEENS1_30default_config_static_selectorELNS0_4arch9wavefront6targetE0EEEvSY_
		.amdhsa_group_segment_fixed_size 0
		.amdhsa_private_segment_fixed_size 0
		.amdhsa_kernarg_size 64
		.amdhsa_user_sgpr_count 15
		.amdhsa_user_sgpr_dispatch_ptr 0
		.amdhsa_user_sgpr_queue_ptr 0
		.amdhsa_user_sgpr_kernarg_segment_ptr 1
		.amdhsa_user_sgpr_dispatch_id 0
		.amdhsa_user_sgpr_private_segment_size 0
		.amdhsa_wavefront_size32 1
		.amdhsa_uses_dynamic_stack 0
		.amdhsa_enable_private_segment 0
		.amdhsa_system_sgpr_workgroup_id_x 1
		.amdhsa_system_sgpr_workgroup_id_y 0
		.amdhsa_system_sgpr_workgroup_id_z 0
		.amdhsa_system_sgpr_workgroup_info 0
		.amdhsa_system_vgpr_workitem_id 0
		.amdhsa_next_free_vgpr 1
		.amdhsa_next_free_sgpr 1
		.amdhsa_reserve_vcc 0
		.amdhsa_float_round_mode_32 0
		.amdhsa_float_round_mode_16_64 0
		.amdhsa_float_denorm_mode_32 3
		.amdhsa_float_denorm_mode_16_64 3
		.amdhsa_dx10_clamp 1
		.amdhsa_ieee_mode 1
		.amdhsa_fp16_overflow 0
		.amdhsa_workgroup_processor_mode 1
		.amdhsa_memory_ordered 1
		.amdhsa_forward_progress 0
		.amdhsa_shared_vgpr_count 0
		.amdhsa_exception_fp_ieee_invalid_op 0
		.amdhsa_exception_fp_denorm_src 0
		.amdhsa_exception_fp_ieee_div_zero 0
		.amdhsa_exception_fp_ieee_overflow 0
		.amdhsa_exception_fp_ieee_underflow 0
		.amdhsa_exception_fp_ieee_inexact 0
		.amdhsa_exception_int_div_zero 0
	.end_amdhsa_kernel
	.section	.text._ZN7rocprim17ROCPRIM_400000_NS6detail17trampoline_kernelINS0_14default_configENS1_22reduce_config_selectorIN6thrust23THRUST_200600_302600_NS5tupleIbffNS6_9null_typeES8_S8_S8_S8_S8_S8_EEEEZNS1_11reduce_implILb1ES3_NS6_11hip_rocprim26transform_input_iterator_tIS9_NS6_12zip_iteratorINS7_INS6_17counting_iteratorIiNS6_11use_defaultESG_SG_EENS6_6detail15normal_iteratorINS6_10device_ptrIfEEEES8_S8_S8_S8_S8_S8_S8_S8_EEEE15transform_tupleIifEEEPS9_S9_12reduce_tupleIifEEE10hipError_tPvRmT1_T2_T3_mT4_P12ihipStream_tbEUlT_E1_NS1_11comp_targetILNS1_3genE4ELNS1_11target_archE910ELNS1_3gpuE8ELNS1_3repE0EEENS1_30default_config_static_selectorELNS0_4arch9wavefront6targetE0EEEvSY_,"axG",@progbits,_ZN7rocprim17ROCPRIM_400000_NS6detail17trampoline_kernelINS0_14default_configENS1_22reduce_config_selectorIN6thrust23THRUST_200600_302600_NS5tupleIbffNS6_9null_typeES8_S8_S8_S8_S8_S8_EEEEZNS1_11reduce_implILb1ES3_NS6_11hip_rocprim26transform_input_iterator_tIS9_NS6_12zip_iteratorINS7_INS6_17counting_iteratorIiNS6_11use_defaultESG_SG_EENS6_6detail15normal_iteratorINS6_10device_ptrIfEEEES8_S8_S8_S8_S8_S8_S8_S8_EEEE15transform_tupleIifEEEPS9_S9_12reduce_tupleIifEEE10hipError_tPvRmT1_T2_T3_mT4_P12ihipStream_tbEUlT_E1_NS1_11comp_targetILNS1_3genE4ELNS1_11target_archE910ELNS1_3gpuE8ELNS1_3repE0EEENS1_30default_config_static_selectorELNS0_4arch9wavefront6targetE0EEEvSY_,comdat
.Lfunc_end30:
	.size	_ZN7rocprim17ROCPRIM_400000_NS6detail17trampoline_kernelINS0_14default_configENS1_22reduce_config_selectorIN6thrust23THRUST_200600_302600_NS5tupleIbffNS6_9null_typeES8_S8_S8_S8_S8_S8_EEEEZNS1_11reduce_implILb1ES3_NS6_11hip_rocprim26transform_input_iterator_tIS9_NS6_12zip_iteratorINS7_INS6_17counting_iteratorIiNS6_11use_defaultESG_SG_EENS6_6detail15normal_iteratorINS6_10device_ptrIfEEEES8_S8_S8_S8_S8_S8_S8_S8_EEEE15transform_tupleIifEEEPS9_S9_12reduce_tupleIifEEE10hipError_tPvRmT1_T2_T3_mT4_P12ihipStream_tbEUlT_E1_NS1_11comp_targetILNS1_3genE4ELNS1_11target_archE910ELNS1_3gpuE8ELNS1_3repE0EEENS1_30default_config_static_selectorELNS0_4arch9wavefront6targetE0EEEvSY_, .Lfunc_end30-_ZN7rocprim17ROCPRIM_400000_NS6detail17trampoline_kernelINS0_14default_configENS1_22reduce_config_selectorIN6thrust23THRUST_200600_302600_NS5tupleIbffNS6_9null_typeES8_S8_S8_S8_S8_S8_EEEEZNS1_11reduce_implILb1ES3_NS6_11hip_rocprim26transform_input_iterator_tIS9_NS6_12zip_iteratorINS7_INS6_17counting_iteratorIiNS6_11use_defaultESG_SG_EENS6_6detail15normal_iteratorINS6_10device_ptrIfEEEES8_S8_S8_S8_S8_S8_S8_S8_EEEE15transform_tupleIifEEEPS9_S9_12reduce_tupleIifEEE10hipError_tPvRmT1_T2_T3_mT4_P12ihipStream_tbEUlT_E1_NS1_11comp_targetILNS1_3genE4ELNS1_11target_archE910ELNS1_3gpuE8ELNS1_3repE0EEENS1_30default_config_static_selectorELNS0_4arch9wavefront6targetE0EEEvSY_
                                        ; -- End function
	.section	.AMDGPU.csdata,"",@progbits
; Kernel info:
; codeLenInByte = 0
; NumSgprs: 0
; NumVgprs: 0
; ScratchSize: 0
; MemoryBound: 0
; FloatMode: 240
; IeeeMode: 1
; LDSByteSize: 0 bytes/workgroup (compile time only)
; SGPRBlocks: 0
; VGPRBlocks: 0
; NumSGPRsForWavesPerEU: 1
; NumVGPRsForWavesPerEU: 1
; Occupancy: 16
; WaveLimiterHint : 0
; COMPUTE_PGM_RSRC2:SCRATCH_EN: 0
; COMPUTE_PGM_RSRC2:USER_SGPR: 15
; COMPUTE_PGM_RSRC2:TRAP_HANDLER: 0
; COMPUTE_PGM_RSRC2:TGID_X_EN: 1
; COMPUTE_PGM_RSRC2:TGID_Y_EN: 0
; COMPUTE_PGM_RSRC2:TGID_Z_EN: 0
; COMPUTE_PGM_RSRC2:TIDIG_COMP_CNT: 0
	.section	.text._ZN7rocprim17ROCPRIM_400000_NS6detail17trampoline_kernelINS0_14default_configENS1_22reduce_config_selectorIN6thrust23THRUST_200600_302600_NS5tupleIbffNS6_9null_typeES8_S8_S8_S8_S8_S8_EEEEZNS1_11reduce_implILb1ES3_NS6_11hip_rocprim26transform_input_iterator_tIS9_NS6_12zip_iteratorINS7_INS6_17counting_iteratorIiNS6_11use_defaultESG_SG_EENS6_6detail15normal_iteratorINS6_10device_ptrIfEEEES8_S8_S8_S8_S8_S8_S8_S8_EEEE15transform_tupleIifEEEPS9_S9_12reduce_tupleIifEEE10hipError_tPvRmT1_T2_T3_mT4_P12ihipStream_tbEUlT_E1_NS1_11comp_targetILNS1_3genE3ELNS1_11target_archE908ELNS1_3gpuE7ELNS1_3repE0EEENS1_30default_config_static_selectorELNS0_4arch9wavefront6targetE0EEEvSY_,"axG",@progbits,_ZN7rocprim17ROCPRIM_400000_NS6detail17trampoline_kernelINS0_14default_configENS1_22reduce_config_selectorIN6thrust23THRUST_200600_302600_NS5tupleIbffNS6_9null_typeES8_S8_S8_S8_S8_S8_EEEEZNS1_11reduce_implILb1ES3_NS6_11hip_rocprim26transform_input_iterator_tIS9_NS6_12zip_iteratorINS7_INS6_17counting_iteratorIiNS6_11use_defaultESG_SG_EENS6_6detail15normal_iteratorINS6_10device_ptrIfEEEES8_S8_S8_S8_S8_S8_S8_S8_EEEE15transform_tupleIifEEEPS9_S9_12reduce_tupleIifEEE10hipError_tPvRmT1_T2_T3_mT4_P12ihipStream_tbEUlT_E1_NS1_11comp_targetILNS1_3genE3ELNS1_11target_archE908ELNS1_3gpuE7ELNS1_3repE0EEENS1_30default_config_static_selectorELNS0_4arch9wavefront6targetE0EEEvSY_,comdat
	.protected	_ZN7rocprim17ROCPRIM_400000_NS6detail17trampoline_kernelINS0_14default_configENS1_22reduce_config_selectorIN6thrust23THRUST_200600_302600_NS5tupleIbffNS6_9null_typeES8_S8_S8_S8_S8_S8_EEEEZNS1_11reduce_implILb1ES3_NS6_11hip_rocprim26transform_input_iterator_tIS9_NS6_12zip_iteratorINS7_INS6_17counting_iteratorIiNS6_11use_defaultESG_SG_EENS6_6detail15normal_iteratorINS6_10device_ptrIfEEEES8_S8_S8_S8_S8_S8_S8_S8_EEEE15transform_tupleIifEEEPS9_S9_12reduce_tupleIifEEE10hipError_tPvRmT1_T2_T3_mT4_P12ihipStream_tbEUlT_E1_NS1_11comp_targetILNS1_3genE3ELNS1_11target_archE908ELNS1_3gpuE7ELNS1_3repE0EEENS1_30default_config_static_selectorELNS0_4arch9wavefront6targetE0EEEvSY_ ; -- Begin function _ZN7rocprim17ROCPRIM_400000_NS6detail17trampoline_kernelINS0_14default_configENS1_22reduce_config_selectorIN6thrust23THRUST_200600_302600_NS5tupleIbffNS6_9null_typeES8_S8_S8_S8_S8_S8_EEEEZNS1_11reduce_implILb1ES3_NS6_11hip_rocprim26transform_input_iterator_tIS9_NS6_12zip_iteratorINS7_INS6_17counting_iteratorIiNS6_11use_defaultESG_SG_EENS6_6detail15normal_iteratorINS6_10device_ptrIfEEEES8_S8_S8_S8_S8_S8_S8_S8_EEEE15transform_tupleIifEEEPS9_S9_12reduce_tupleIifEEE10hipError_tPvRmT1_T2_T3_mT4_P12ihipStream_tbEUlT_E1_NS1_11comp_targetILNS1_3genE3ELNS1_11target_archE908ELNS1_3gpuE7ELNS1_3repE0EEENS1_30default_config_static_selectorELNS0_4arch9wavefront6targetE0EEEvSY_
	.globl	_ZN7rocprim17ROCPRIM_400000_NS6detail17trampoline_kernelINS0_14default_configENS1_22reduce_config_selectorIN6thrust23THRUST_200600_302600_NS5tupleIbffNS6_9null_typeES8_S8_S8_S8_S8_S8_EEEEZNS1_11reduce_implILb1ES3_NS6_11hip_rocprim26transform_input_iterator_tIS9_NS6_12zip_iteratorINS7_INS6_17counting_iteratorIiNS6_11use_defaultESG_SG_EENS6_6detail15normal_iteratorINS6_10device_ptrIfEEEES8_S8_S8_S8_S8_S8_S8_S8_EEEE15transform_tupleIifEEEPS9_S9_12reduce_tupleIifEEE10hipError_tPvRmT1_T2_T3_mT4_P12ihipStream_tbEUlT_E1_NS1_11comp_targetILNS1_3genE3ELNS1_11target_archE908ELNS1_3gpuE7ELNS1_3repE0EEENS1_30default_config_static_selectorELNS0_4arch9wavefront6targetE0EEEvSY_
	.p2align	8
	.type	_ZN7rocprim17ROCPRIM_400000_NS6detail17trampoline_kernelINS0_14default_configENS1_22reduce_config_selectorIN6thrust23THRUST_200600_302600_NS5tupleIbffNS6_9null_typeES8_S8_S8_S8_S8_S8_EEEEZNS1_11reduce_implILb1ES3_NS6_11hip_rocprim26transform_input_iterator_tIS9_NS6_12zip_iteratorINS7_INS6_17counting_iteratorIiNS6_11use_defaultESG_SG_EENS6_6detail15normal_iteratorINS6_10device_ptrIfEEEES8_S8_S8_S8_S8_S8_S8_S8_EEEE15transform_tupleIifEEEPS9_S9_12reduce_tupleIifEEE10hipError_tPvRmT1_T2_T3_mT4_P12ihipStream_tbEUlT_E1_NS1_11comp_targetILNS1_3genE3ELNS1_11target_archE908ELNS1_3gpuE7ELNS1_3repE0EEENS1_30default_config_static_selectorELNS0_4arch9wavefront6targetE0EEEvSY_,@function
_ZN7rocprim17ROCPRIM_400000_NS6detail17trampoline_kernelINS0_14default_configENS1_22reduce_config_selectorIN6thrust23THRUST_200600_302600_NS5tupleIbffNS6_9null_typeES8_S8_S8_S8_S8_S8_EEEEZNS1_11reduce_implILb1ES3_NS6_11hip_rocprim26transform_input_iterator_tIS9_NS6_12zip_iteratorINS7_INS6_17counting_iteratorIiNS6_11use_defaultESG_SG_EENS6_6detail15normal_iteratorINS6_10device_ptrIfEEEES8_S8_S8_S8_S8_S8_S8_S8_EEEE15transform_tupleIifEEEPS9_S9_12reduce_tupleIifEEE10hipError_tPvRmT1_T2_T3_mT4_P12ihipStream_tbEUlT_E1_NS1_11comp_targetILNS1_3genE3ELNS1_11target_archE908ELNS1_3gpuE7ELNS1_3repE0EEENS1_30default_config_static_selectorELNS0_4arch9wavefront6targetE0EEEvSY_: ; @_ZN7rocprim17ROCPRIM_400000_NS6detail17trampoline_kernelINS0_14default_configENS1_22reduce_config_selectorIN6thrust23THRUST_200600_302600_NS5tupleIbffNS6_9null_typeES8_S8_S8_S8_S8_S8_EEEEZNS1_11reduce_implILb1ES3_NS6_11hip_rocprim26transform_input_iterator_tIS9_NS6_12zip_iteratorINS7_INS6_17counting_iteratorIiNS6_11use_defaultESG_SG_EENS6_6detail15normal_iteratorINS6_10device_ptrIfEEEES8_S8_S8_S8_S8_S8_S8_S8_EEEE15transform_tupleIifEEEPS9_S9_12reduce_tupleIifEEE10hipError_tPvRmT1_T2_T3_mT4_P12ihipStream_tbEUlT_E1_NS1_11comp_targetILNS1_3genE3ELNS1_11target_archE908ELNS1_3gpuE7ELNS1_3repE0EEENS1_30default_config_static_selectorELNS0_4arch9wavefront6targetE0EEEvSY_
; %bb.0:
	.section	.rodata,"a",@progbits
	.p2align	6, 0x0
	.amdhsa_kernel _ZN7rocprim17ROCPRIM_400000_NS6detail17trampoline_kernelINS0_14default_configENS1_22reduce_config_selectorIN6thrust23THRUST_200600_302600_NS5tupleIbffNS6_9null_typeES8_S8_S8_S8_S8_S8_EEEEZNS1_11reduce_implILb1ES3_NS6_11hip_rocprim26transform_input_iterator_tIS9_NS6_12zip_iteratorINS7_INS6_17counting_iteratorIiNS6_11use_defaultESG_SG_EENS6_6detail15normal_iteratorINS6_10device_ptrIfEEEES8_S8_S8_S8_S8_S8_S8_S8_EEEE15transform_tupleIifEEEPS9_S9_12reduce_tupleIifEEE10hipError_tPvRmT1_T2_T3_mT4_P12ihipStream_tbEUlT_E1_NS1_11comp_targetILNS1_3genE3ELNS1_11target_archE908ELNS1_3gpuE7ELNS1_3repE0EEENS1_30default_config_static_selectorELNS0_4arch9wavefront6targetE0EEEvSY_
		.amdhsa_group_segment_fixed_size 0
		.amdhsa_private_segment_fixed_size 0
		.amdhsa_kernarg_size 64
		.amdhsa_user_sgpr_count 15
		.amdhsa_user_sgpr_dispatch_ptr 0
		.amdhsa_user_sgpr_queue_ptr 0
		.amdhsa_user_sgpr_kernarg_segment_ptr 1
		.amdhsa_user_sgpr_dispatch_id 0
		.amdhsa_user_sgpr_private_segment_size 0
		.amdhsa_wavefront_size32 1
		.amdhsa_uses_dynamic_stack 0
		.amdhsa_enable_private_segment 0
		.amdhsa_system_sgpr_workgroup_id_x 1
		.amdhsa_system_sgpr_workgroup_id_y 0
		.amdhsa_system_sgpr_workgroup_id_z 0
		.amdhsa_system_sgpr_workgroup_info 0
		.amdhsa_system_vgpr_workitem_id 0
		.amdhsa_next_free_vgpr 1
		.amdhsa_next_free_sgpr 1
		.amdhsa_reserve_vcc 0
		.amdhsa_float_round_mode_32 0
		.amdhsa_float_round_mode_16_64 0
		.amdhsa_float_denorm_mode_32 3
		.amdhsa_float_denorm_mode_16_64 3
		.amdhsa_dx10_clamp 1
		.amdhsa_ieee_mode 1
		.amdhsa_fp16_overflow 0
		.amdhsa_workgroup_processor_mode 1
		.amdhsa_memory_ordered 1
		.amdhsa_forward_progress 0
		.amdhsa_shared_vgpr_count 0
		.amdhsa_exception_fp_ieee_invalid_op 0
		.amdhsa_exception_fp_denorm_src 0
		.amdhsa_exception_fp_ieee_div_zero 0
		.amdhsa_exception_fp_ieee_overflow 0
		.amdhsa_exception_fp_ieee_underflow 0
		.amdhsa_exception_fp_ieee_inexact 0
		.amdhsa_exception_int_div_zero 0
	.end_amdhsa_kernel
	.section	.text._ZN7rocprim17ROCPRIM_400000_NS6detail17trampoline_kernelINS0_14default_configENS1_22reduce_config_selectorIN6thrust23THRUST_200600_302600_NS5tupleIbffNS6_9null_typeES8_S8_S8_S8_S8_S8_EEEEZNS1_11reduce_implILb1ES3_NS6_11hip_rocprim26transform_input_iterator_tIS9_NS6_12zip_iteratorINS7_INS6_17counting_iteratorIiNS6_11use_defaultESG_SG_EENS6_6detail15normal_iteratorINS6_10device_ptrIfEEEES8_S8_S8_S8_S8_S8_S8_S8_EEEE15transform_tupleIifEEEPS9_S9_12reduce_tupleIifEEE10hipError_tPvRmT1_T2_T3_mT4_P12ihipStream_tbEUlT_E1_NS1_11comp_targetILNS1_3genE3ELNS1_11target_archE908ELNS1_3gpuE7ELNS1_3repE0EEENS1_30default_config_static_selectorELNS0_4arch9wavefront6targetE0EEEvSY_,"axG",@progbits,_ZN7rocprim17ROCPRIM_400000_NS6detail17trampoline_kernelINS0_14default_configENS1_22reduce_config_selectorIN6thrust23THRUST_200600_302600_NS5tupleIbffNS6_9null_typeES8_S8_S8_S8_S8_S8_EEEEZNS1_11reduce_implILb1ES3_NS6_11hip_rocprim26transform_input_iterator_tIS9_NS6_12zip_iteratorINS7_INS6_17counting_iteratorIiNS6_11use_defaultESG_SG_EENS6_6detail15normal_iteratorINS6_10device_ptrIfEEEES8_S8_S8_S8_S8_S8_S8_S8_EEEE15transform_tupleIifEEEPS9_S9_12reduce_tupleIifEEE10hipError_tPvRmT1_T2_T3_mT4_P12ihipStream_tbEUlT_E1_NS1_11comp_targetILNS1_3genE3ELNS1_11target_archE908ELNS1_3gpuE7ELNS1_3repE0EEENS1_30default_config_static_selectorELNS0_4arch9wavefront6targetE0EEEvSY_,comdat
.Lfunc_end31:
	.size	_ZN7rocprim17ROCPRIM_400000_NS6detail17trampoline_kernelINS0_14default_configENS1_22reduce_config_selectorIN6thrust23THRUST_200600_302600_NS5tupleIbffNS6_9null_typeES8_S8_S8_S8_S8_S8_EEEEZNS1_11reduce_implILb1ES3_NS6_11hip_rocprim26transform_input_iterator_tIS9_NS6_12zip_iteratorINS7_INS6_17counting_iteratorIiNS6_11use_defaultESG_SG_EENS6_6detail15normal_iteratorINS6_10device_ptrIfEEEES8_S8_S8_S8_S8_S8_S8_S8_EEEE15transform_tupleIifEEEPS9_S9_12reduce_tupleIifEEE10hipError_tPvRmT1_T2_T3_mT4_P12ihipStream_tbEUlT_E1_NS1_11comp_targetILNS1_3genE3ELNS1_11target_archE908ELNS1_3gpuE7ELNS1_3repE0EEENS1_30default_config_static_selectorELNS0_4arch9wavefront6targetE0EEEvSY_, .Lfunc_end31-_ZN7rocprim17ROCPRIM_400000_NS6detail17trampoline_kernelINS0_14default_configENS1_22reduce_config_selectorIN6thrust23THRUST_200600_302600_NS5tupleIbffNS6_9null_typeES8_S8_S8_S8_S8_S8_EEEEZNS1_11reduce_implILb1ES3_NS6_11hip_rocprim26transform_input_iterator_tIS9_NS6_12zip_iteratorINS7_INS6_17counting_iteratorIiNS6_11use_defaultESG_SG_EENS6_6detail15normal_iteratorINS6_10device_ptrIfEEEES8_S8_S8_S8_S8_S8_S8_S8_EEEE15transform_tupleIifEEEPS9_S9_12reduce_tupleIifEEE10hipError_tPvRmT1_T2_T3_mT4_P12ihipStream_tbEUlT_E1_NS1_11comp_targetILNS1_3genE3ELNS1_11target_archE908ELNS1_3gpuE7ELNS1_3repE0EEENS1_30default_config_static_selectorELNS0_4arch9wavefront6targetE0EEEvSY_
                                        ; -- End function
	.section	.AMDGPU.csdata,"",@progbits
; Kernel info:
; codeLenInByte = 0
; NumSgprs: 0
; NumVgprs: 0
; ScratchSize: 0
; MemoryBound: 0
; FloatMode: 240
; IeeeMode: 1
; LDSByteSize: 0 bytes/workgroup (compile time only)
; SGPRBlocks: 0
; VGPRBlocks: 0
; NumSGPRsForWavesPerEU: 1
; NumVGPRsForWavesPerEU: 1
; Occupancy: 16
; WaveLimiterHint : 0
; COMPUTE_PGM_RSRC2:SCRATCH_EN: 0
; COMPUTE_PGM_RSRC2:USER_SGPR: 15
; COMPUTE_PGM_RSRC2:TRAP_HANDLER: 0
; COMPUTE_PGM_RSRC2:TGID_X_EN: 1
; COMPUTE_PGM_RSRC2:TGID_Y_EN: 0
; COMPUTE_PGM_RSRC2:TGID_Z_EN: 0
; COMPUTE_PGM_RSRC2:TIDIG_COMP_CNT: 0
	.section	.text._ZN7rocprim17ROCPRIM_400000_NS6detail17trampoline_kernelINS0_14default_configENS1_22reduce_config_selectorIN6thrust23THRUST_200600_302600_NS5tupleIbffNS6_9null_typeES8_S8_S8_S8_S8_S8_EEEEZNS1_11reduce_implILb1ES3_NS6_11hip_rocprim26transform_input_iterator_tIS9_NS6_12zip_iteratorINS7_INS6_17counting_iteratorIiNS6_11use_defaultESG_SG_EENS6_6detail15normal_iteratorINS6_10device_ptrIfEEEES8_S8_S8_S8_S8_S8_S8_S8_EEEE15transform_tupleIifEEEPS9_S9_12reduce_tupleIifEEE10hipError_tPvRmT1_T2_T3_mT4_P12ihipStream_tbEUlT_E1_NS1_11comp_targetILNS1_3genE2ELNS1_11target_archE906ELNS1_3gpuE6ELNS1_3repE0EEENS1_30default_config_static_selectorELNS0_4arch9wavefront6targetE0EEEvSY_,"axG",@progbits,_ZN7rocprim17ROCPRIM_400000_NS6detail17trampoline_kernelINS0_14default_configENS1_22reduce_config_selectorIN6thrust23THRUST_200600_302600_NS5tupleIbffNS6_9null_typeES8_S8_S8_S8_S8_S8_EEEEZNS1_11reduce_implILb1ES3_NS6_11hip_rocprim26transform_input_iterator_tIS9_NS6_12zip_iteratorINS7_INS6_17counting_iteratorIiNS6_11use_defaultESG_SG_EENS6_6detail15normal_iteratorINS6_10device_ptrIfEEEES8_S8_S8_S8_S8_S8_S8_S8_EEEE15transform_tupleIifEEEPS9_S9_12reduce_tupleIifEEE10hipError_tPvRmT1_T2_T3_mT4_P12ihipStream_tbEUlT_E1_NS1_11comp_targetILNS1_3genE2ELNS1_11target_archE906ELNS1_3gpuE6ELNS1_3repE0EEENS1_30default_config_static_selectorELNS0_4arch9wavefront6targetE0EEEvSY_,comdat
	.protected	_ZN7rocprim17ROCPRIM_400000_NS6detail17trampoline_kernelINS0_14default_configENS1_22reduce_config_selectorIN6thrust23THRUST_200600_302600_NS5tupleIbffNS6_9null_typeES8_S8_S8_S8_S8_S8_EEEEZNS1_11reduce_implILb1ES3_NS6_11hip_rocprim26transform_input_iterator_tIS9_NS6_12zip_iteratorINS7_INS6_17counting_iteratorIiNS6_11use_defaultESG_SG_EENS6_6detail15normal_iteratorINS6_10device_ptrIfEEEES8_S8_S8_S8_S8_S8_S8_S8_EEEE15transform_tupleIifEEEPS9_S9_12reduce_tupleIifEEE10hipError_tPvRmT1_T2_T3_mT4_P12ihipStream_tbEUlT_E1_NS1_11comp_targetILNS1_3genE2ELNS1_11target_archE906ELNS1_3gpuE6ELNS1_3repE0EEENS1_30default_config_static_selectorELNS0_4arch9wavefront6targetE0EEEvSY_ ; -- Begin function _ZN7rocprim17ROCPRIM_400000_NS6detail17trampoline_kernelINS0_14default_configENS1_22reduce_config_selectorIN6thrust23THRUST_200600_302600_NS5tupleIbffNS6_9null_typeES8_S8_S8_S8_S8_S8_EEEEZNS1_11reduce_implILb1ES3_NS6_11hip_rocprim26transform_input_iterator_tIS9_NS6_12zip_iteratorINS7_INS6_17counting_iteratorIiNS6_11use_defaultESG_SG_EENS6_6detail15normal_iteratorINS6_10device_ptrIfEEEES8_S8_S8_S8_S8_S8_S8_S8_EEEE15transform_tupleIifEEEPS9_S9_12reduce_tupleIifEEE10hipError_tPvRmT1_T2_T3_mT4_P12ihipStream_tbEUlT_E1_NS1_11comp_targetILNS1_3genE2ELNS1_11target_archE906ELNS1_3gpuE6ELNS1_3repE0EEENS1_30default_config_static_selectorELNS0_4arch9wavefront6targetE0EEEvSY_
	.globl	_ZN7rocprim17ROCPRIM_400000_NS6detail17trampoline_kernelINS0_14default_configENS1_22reduce_config_selectorIN6thrust23THRUST_200600_302600_NS5tupleIbffNS6_9null_typeES8_S8_S8_S8_S8_S8_EEEEZNS1_11reduce_implILb1ES3_NS6_11hip_rocprim26transform_input_iterator_tIS9_NS6_12zip_iteratorINS7_INS6_17counting_iteratorIiNS6_11use_defaultESG_SG_EENS6_6detail15normal_iteratorINS6_10device_ptrIfEEEES8_S8_S8_S8_S8_S8_S8_S8_EEEE15transform_tupleIifEEEPS9_S9_12reduce_tupleIifEEE10hipError_tPvRmT1_T2_T3_mT4_P12ihipStream_tbEUlT_E1_NS1_11comp_targetILNS1_3genE2ELNS1_11target_archE906ELNS1_3gpuE6ELNS1_3repE0EEENS1_30default_config_static_selectorELNS0_4arch9wavefront6targetE0EEEvSY_
	.p2align	8
	.type	_ZN7rocprim17ROCPRIM_400000_NS6detail17trampoline_kernelINS0_14default_configENS1_22reduce_config_selectorIN6thrust23THRUST_200600_302600_NS5tupleIbffNS6_9null_typeES8_S8_S8_S8_S8_S8_EEEEZNS1_11reduce_implILb1ES3_NS6_11hip_rocprim26transform_input_iterator_tIS9_NS6_12zip_iteratorINS7_INS6_17counting_iteratorIiNS6_11use_defaultESG_SG_EENS6_6detail15normal_iteratorINS6_10device_ptrIfEEEES8_S8_S8_S8_S8_S8_S8_S8_EEEE15transform_tupleIifEEEPS9_S9_12reduce_tupleIifEEE10hipError_tPvRmT1_T2_T3_mT4_P12ihipStream_tbEUlT_E1_NS1_11comp_targetILNS1_3genE2ELNS1_11target_archE906ELNS1_3gpuE6ELNS1_3repE0EEENS1_30default_config_static_selectorELNS0_4arch9wavefront6targetE0EEEvSY_,@function
_ZN7rocprim17ROCPRIM_400000_NS6detail17trampoline_kernelINS0_14default_configENS1_22reduce_config_selectorIN6thrust23THRUST_200600_302600_NS5tupleIbffNS6_9null_typeES8_S8_S8_S8_S8_S8_EEEEZNS1_11reduce_implILb1ES3_NS6_11hip_rocprim26transform_input_iterator_tIS9_NS6_12zip_iteratorINS7_INS6_17counting_iteratorIiNS6_11use_defaultESG_SG_EENS6_6detail15normal_iteratorINS6_10device_ptrIfEEEES8_S8_S8_S8_S8_S8_S8_S8_EEEE15transform_tupleIifEEEPS9_S9_12reduce_tupleIifEEE10hipError_tPvRmT1_T2_T3_mT4_P12ihipStream_tbEUlT_E1_NS1_11comp_targetILNS1_3genE2ELNS1_11target_archE906ELNS1_3gpuE6ELNS1_3repE0EEENS1_30default_config_static_selectorELNS0_4arch9wavefront6targetE0EEEvSY_: ; @_ZN7rocprim17ROCPRIM_400000_NS6detail17trampoline_kernelINS0_14default_configENS1_22reduce_config_selectorIN6thrust23THRUST_200600_302600_NS5tupleIbffNS6_9null_typeES8_S8_S8_S8_S8_S8_EEEEZNS1_11reduce_implILb1ES3_NS6_11hip_rocprim26transform_input_iterator_tIS9_NS6_12zip_iteratorINS7_INS6_17counting_iteratorIiNS6_11use_defaultESG_SG_EENS6_6detail15normal_iteratorINS6_10device_ptrIfEEEES8_S8_S8_S8_S8_S8_S8_S8_EEEE15transform_tupleIifEEEPS9_S9_12reduce_tupleIifEEE10hipError_tPvRmT1_T2_T3_mT4_P12ihipStream_tbEUlT_E1_NS1_11comp_targetILNS1_3genE2ELNS1_11target_archE906ELNS1_3gpuE6ELNS1_3repE0EEENS1_30default_config_static_selectorELNS0_4arch9wavefront6targetE0EEEvSY_
; %bb.0:
	.section	.rodata,"a",@progbits
	.p2align	6, 0x0
	.amdhsa_kernel _ZN7rocprim17ROCPRIM_400000_NS6detail17trampoline_kernelINS0_14default_configENS1_22reduce_config_selectorIN6thrust23THRUST_200600_302600_NS5tupleIbffNS6_9null_typeES8_S8_S8_S8_S8_S8_EEEEZNS1_11reduce_implILb1ES3_NS6_11hip_rocprim26transform_input_iterator_tIS9_NS6_12zip_iteratorINS7_INS6_17counting_iteratorIiNS6_11use_defaultESG_SG_EENS6_6detail15normal_iteratorINS6_10device_ptrIfEEEES8_S8_S8_S8_S8_S8_S8_S8_EEEE15transform_tupleIifEEEPS9_S9_12reduce_tupleIifEEE10hipError_tPvRmT1_T2_T3_mT4_P12ihipStream_tbEUlT_E1_NS1_11comp_targetILNS1_3genE2ELNS1_11target_archE906ELNS1_3gpuE6ELNS1_3repE0EEENS1_30default_config_static_selectorELNS0_4arch9wavefront6targetE0EEEvSY_
		.amdhsa_group_segment_fixed_size 0
		.amdhsa_private_segment_fixed_size 0
		.amdhsa_kernarg_size 64
		.amdhsa_user_sgpr_count 15
		.amdhsa_user_sgpr_dispatch_ptr 0
		.amdhsa_user_sgpr_queue_ptr 0
		.amdhsa_user_sgpr_kernarg_segment_ptr 1
		.amdhsa_user_sgpr_dispatch_id 0
		.amdhsa_user_sgpr_private_segment_size 0
		.amdhsa_wavefront_size32 1
		.amdhsa_uses_dynamic_stack 0
		.amdhsa_enable_private_segment 0
		.amdhsa_system_sgpr_workgroup_id_x 1
		.amdhsa_system_sgpr_workgroup_id_y 0
		.amdhsa_system_sgpr_workgroup_id_z 0
		.amdhsa_system_sgpr_workgroup_info 0
		.amdhsa_system_vgpr_workitem_id 0
		.amdhsa_next_free_vgpr 1
		.amdhsa_next_free_sgpr 1
		.amdhsa_reserve_vcc 0
		.amdhsa_float_round_mode_32 0
		.amdhsa_float_round_mode_16_64 0
		.amdhsa_float_denorm_mode_32 3
		.amdhsa_float_denorm_mode_16_64 3
		.amdhsa_dx10_clamp 1
		.amdhsa_ieee_mode 1
		.amdhsa_fp16_overflow 0
		.amdhsa_workgroup_processor_mode 1
		.amdhsa_memory_ordered 1
		.amdhsa_forward_progress 0
		.amdhsa_shared_vgpr_count 0
		.amdhsa_exception_fp_ieee_invalid_op 0
		.amdhsa_exception_fp_denorm_src 0
		.amdhsa_exception_fp_ieee_div_zero 0
		.amdhsa_exception_fp_ieee_overflow 0
		.amdhsa_exception_fp_ieee_underflow 0
		.amdhsa_exception_fp_ieee_inexact 0
		.amdhsa_exception_int_div_zero 0
	.end_amdhsa_kernel
	.section	.text._ZN7rocprim17ROCPRIM_400000_NS6detail17trampoline_kernelINS0_14default_configENS1_22reduce_config_selectorIN6thrust23THRUST_200600_302600_NS5tupleIbffNS6_9null_typeES8_S8_S8_S8_S8_S8_EEEEZNS1_11reduce_implILb1ES3_NS6_11hip_rocprim26transform_input_iterator_tIS9_NS6_12zip_iteratorINS7_INS6_17counting_iteratorIiNS6_11use_defaultESG_SG_EENS6_6detail15normal_iteratorINS6_10device_ptrIfEEEES8_S8_S8_S8_S8_S8_S8_S8_EEEE15transform_tupleIifEEEPS9_S9_12reduce_tupleIifEEE10hipError_tPvRmT1_T2_T3_mT4_P12ihipStream_tbEUlT_E1_NS1_11comp_targetILNS1_3genE2ELNS1_11target_archE906ELNS1_3gpuE6ELNS1_3repE0EEENS1_30default_config_static_selectorELNS0_4arch9wavefront6targetE0EEEvSY_,"axG",@progbits,_ZN7rocprim17ROCPRIM_400000_NS6detail17trampoline_kernelINS0_14default_configENS1_22reduce_config_selectorIN6thrust23THRUST_200600_302600_NS5tupleIbffNS6_9null_typeES8_S8_S8_S8_S8_S8_EEEEZNS1_11reduce_implILb1ES3_NS6_11hip_rocprim26transform_input_iterator_tIS9_NS6_12zip_iteratorINS7_INS6_17counting_iteratorIiNS6_11use_defaultESG_SG_EENS6_6detail15normal_iteratorINS6_10device_ptrIfEEEES8_S8_S8_S8_S8_S8_S8_S8_EEEE15transform_tupleIifEEEPS9_S9_12reduce_tupleIifEEE10hipError_tPvRmT1_T2_T3_mT4_P12ihipStream_tbEUlT_E1_NS1_11comp_targetILNS1_3genE2ELNS1_11target_archE906ELNS1_3gpuE6ELNS1_3repE0EEENS1_30default_config_static_selectorELNS0_4arch9wavefront6targetE0EEEvSY_,comdat
.Lfunc_end32:
	.size	_ZN7rocprim17ROCPRIM_400000_NS6detail17trampoline_kernelINS0_14default_configENS1_22reduce_config_selectorIN6thrust23THRUST_200600_302600_NS5tupleIbffNS6_9null_typeES8_S8_S8_S8_S8_S8_EEEEZNS1_11reduce_implILb1ES3_NS6_11hip_rocprim26transform_input_iterator_tIS9_NS6_12zip_iteratorINS7_INS6_17counting_iteratorIiNS6_11use_defaultESG_SG_EENS6_6detail15normal_iteratorINS6_10device_ptrIfEEEES8_S8_S8_S8_S8_S8_S8_S8_EEEE15transform_tupleIifEEEPS9_S9_12reduce_tupleIifEEE10hipError_tPvRmT1_T2_T3_mT4_P12ihipStream_tbEUlT_E1_NS1_11comp_targetILNS1_3genE2ELNS1_11target_archE906ELNS1_3gpuE6ELNS1_3repE0EEENS1_30default_config_static_selectorELNS0_4arch9wavefront6targetE0EEEvSY_, .Lfunc_end32-_ZN7rocprim17ROCPRIM_400000_NS6detail17trampoline_kernelINS0_14default_configENS1_22reduce_config_selectorIN6thrust23THRUST_200600_302600_NS5tupleIbffNS6_9null_typeES8_S8_S8_S8_S8_S8_EEEEZNS1_11reduce_implILb1ES3_NS6_11hip_rocprim26transform_input_iterator_tIS9_NS6_12zip_iteratorINS7_INS6_17counting_iteratorIiNS6_11use_defaultESG_SG_EENS6_6detail15normal_iteratorINS6_10device_ptrIfEEEES8_S8_S8_S8_S8_S8_S8_S8_EEEE15transform_tupleIifEEEPS9_S9_12reduce_tupleIifEEE10hipError_tPvRmT1_T2_T3_mT4_P12ihipStream_tbEUlT_E1_NS1_11comp_targetILNS1_3genE2ELNS1_11target_archE906ELNS1_3gpuE6ELNS1_3repE0EEENS1_30default_config_static_selectorELNS0_4arch9wavefront6targetE0EEEvSY_
                                        ; -- End function
	.section	.AMDGPU.csdata,"",@progbits
; Kernel info:
; codeLenInByte = 0
; NumSgprs: 0
; NumVgprs: 0
; ScratchSize: 0
; MemoryBound: 0
; FloatMode: 240
; IeeeMode: 1
; LDSByteSize: 0 bytes/workgroup (compile time only)
; SGPRBlocks: 0
; VGPRBlocks: 0
; NumSGPRsForWavesPerEU: 1
; NumVGPRsForWavesPerEU: 1
; Occupancy: 16
; WaveLimiterHint : 0
; COMPUTE_PGM_RSRC2:SCRATCH_EN: 0
; COMPUTE_PGM_RSRC2:USER_SGPR: 15
; COMPUTE_PGM_RSRC2:TRAP_HANDLER: 0
; COMPUTE_PGM_RSRC2:TGID_X_EN: 1
; COMPUTE_PGM_RSRC2:TGID_Y_EN: 0
; COMPUTE_PGM_RSRC2:TGID_Z_EN: 0
; COMPUTE_PGM_RSRC2:TIDIG_COMP_CNT: 0
	.section	.text._ZN7rocprim17ROCPRIM_400000_NS6detail17trampoline_kernelINS0_14default_configENS1_22reduce_config_selectorIN6thrust23THRUST_200600_302600_NS5tupleIbffNS6_9null_typeES8_S8_S8_S8_S8_S8_EEEEZNS1_11reduce_implILb1ES3_NS6_11hip_rocprim26transform_input_iterator_tIS9_NS6_12zip_iteratorINS7_INS6_17counting_iteratorIiNS6_11use_defaultESG_SG_EENS6_6detail15normal_iteratorINS6_10device_ptrIfEEEES8_S8_S8_S8_S8_S8_S8_S8_EEEE15transform_tupleIifEEEPS9_S9_12reduce_tupleIifEEE10hipError_tPvRmT1_T2_T3_mT4_P12ihipStream_tbEUlT_E1_NS1_11comp_targetILNS1_3genE10ELNS1_11target_archE1201ELNS1_3gpuE5ELNS1_3repE0EEENS1_30default_config_static_selectorELNS0_4arch9wavefront6targetE0EEEvSY_,"axG",@progbits,_ZN7rocprim17ROCPRIM_400000_NS6detail17trampoline_kernelINS0_14default_configENS1_22reduce_config_selectorIN6thrust23THRUST_200600_302600_NS5tupleIbffNS6_9null_typeES8_S8_S8_S8_S8_S8_EEEEZNS1_11reduce_implILb1ES3_NS6_11hip_rocprim26transform_input_iterator_tIS9_NS6_12zip_iteratorINS7_INS6_17counting_iteratorIiNS6_11use_defaultESG_SG_EENS6_6detail15normal_iteratorINS6_10device_ptrIfEEEES8_S8_S8_S8_S8_S8_S8_S8_EEEE15transform_tupleIifEEEPS9_S9_12reduce_tupleIifEEE10hipError_tPvRmT1_T2_T3_mT4_P12ihipStream_tbEUlT_E1_NS1_11comp_targetILNS1_3genE10ELNS1_11target_archE1201ELNS1_3gpuE5ELNS1_3repE0EEENS1_30default_config_static_selectorELNS0_4arch9wavefront6targetE0EEEvSY_,comdat
	.protected	_ZN7rocprim17ROCPRIM_400000_NS6detail17trampoline_kernelINS0_14default_configENS1_22reduce_config_selectorIN6thrust23THRUST_200600_302600_NS5tupleIbffNS6_9null_typeES8_S8_S8_S8_S8_S8_EEEEZNS1_11reduce_implILb1ES3_NS6_11hip_rocprim26transform_input_iterator_tIS9_NS6_12zip_iteratorINS7_INS6_17counting_iteratorIiNS6_11use_defaultESG_SG_EENS6_6detail15normal_iteratorINS6_10device_ptrIfEEEES8_S8_S8_S8_S8_S8_S8_S8_EEEE15transform_tupleIifEEEPS9_S9_12reduce_tupleIifEEE10hipError_tPvRmT1_T2_T3_mT4_P12ihipStream_tbEUlT_E1_NS1_11comp_targetILNS1_3genE10ELNS1_11target_archE1201ELNS1_3gpuE5ELNS1_3repE0EEENS1_30default_config_static_selectorELNS0_4arch9wavefront6targetE0EEEvSY_ ; -- Begin function _ZN7rocprim17ROCPRIM_400000_NS6detail17trampoline_kernelINS0_14default_configENS1_22reduce_config_selectorIN6thrust23THRUST_200600_302600_NS5tupleIbffNS6_9null_typeES8_S8_S8_S8_S8_S8_EEEEZNS1_11reduce_implILb1ES3_NS6_11hip_rocprim26transform_input_iterator_tIS9_NS6_12zip_iteratorINS7_INS6_17counting_iteratorIiNS6_11use_defaultESG_SG_EENS6_6detail15normal_iteratorINS6_10device_ptrIfEEEES8_S8_S8_S8_S8_S8_S8_S8_EEEE15transform_tupleIifEEEPS9_S9_12reduce_tupleIifEEE10hipError_tPvRmT1_T2_T3_mT4_P12ihipStream_tbEUlT_E1_NS1_11comp_targetILNS1_3genE10ELNS1_11target_archE1201ELNS1_3gpuE5ELNS1_3repE0EEENS1_30default_config_static_selectorELNS0_4arch9wavefront6targetE0EEEvSY_
	.globl	_ZN7rocprim17ROCPRIM_400000_NS6detail17trampoline_kernelINS0_14default_configENS1_22reduce_config_selectorIN6thrust23THRUST_200600_302600_NS5tupleIbffNS6_9null_typeES8_S8_S8_S8_S8_S8_EEEEZNS1_11reduce_implILb1ES3_NS6_11hip_rocprim26transform_input_iterator_tIS9_NS6_12zip_iteratorINS7_INS6_17counting_iteratorIiNS6_11use_defaultESG_SG_EENS6_6detail15normal_iteratorINS6_10device_ptrIfEEEES8_S8_S8_S8_S8_S8_S8_S8_EEEE15transform_tupleIifEEEPS9_S9_12reduce_tupleIifEEE10hipError_tPvRmT1_T2_T3_mT4_P12ihipStream_tbEUlT_E1_NS1_11comp_targetILNS1_3genE10ELNS1_11target_archE1201ELNS1_3gpuE5ELNS1_3repE0EEENS1_30default_config_static_selectorELNS0_4arch9wavefront6targetE0EEEvSY_
	.p2align	8
	.type	_ZN7rocprim17ROCPRIM_400000_NS6detail17trampoline_kernelINS0_14default_configENS1_22reduce_config_selectorIN6thrust23THRUST_200600_302600_NS5tupleIbffNS6_9null_typeES8_S8_S8_S8_S8_S8_EEEEZNS1_11reduce_implILb1ES3_NS6_11hip_rocprim26transform_input_iterator_tIS9_NS6_12zip_iteratorINS7_INS6_17counting_iteratorIiNS6_11use_defaultESG_SG_EENS6_6detail15normal_iteratorINS6_10device_ptrIfEEEES8_S8_S8_S8_S8_S8_S8_S8_EEEE15transform_tupleIifEEEPS9_S9_12reduce_tupleIifEEE10hipError_tPvRmT1_T2_T3_mT4_P12ihipStream_tbEUlT_E1_NS1_11comp_targetILNS1_3genE10ELNS1_11target_archE1201ELNS1_3gpuE5ELNS1_3repE0EEENS1_30default_config_static_selectorELNS0_4arch9wavefront6targetE0EEEvSY_,@function
_ZN7rocprim17ROCPRIM_400000_NS6detail17trampoline_kernelINS0_14default_configENS1_22reduce_config_selectorIN6thrust23THRUST_200600_302600_NS5tupleIbffNS6_9null_typeES8_S8_S8_S8_S8_S8_EEEEZNS1_11reduce_implILb1ES3_NS6_11hip_rocprim26transform_input_iterator_tIS9_NS6_12zip_iteratorINS7_INS6_17counting_iteratorIiNS6_11use_defaultESG_SG_EENS6_6detail15normal_iteratorINS6_10device_ptrIfEEEES8_S8_S8_S8_S8_S8_S8_S8_EEEE15transform_tupleIifEEEPS9_S9_12reduce_tupleIifEEE10hipError_tPvRmT1_T2_T3_mT4_P12ihipStream_tbEUlT_E1_NS1_11comp_targetILNS1_3genE10ELNS1_11target_archE1201ELNS1_3gpuE5ELNS1_3repE0EEENS1_30default_config_static_selectorELNS0_4arch9wavefront6targetE0EEEvSY_: ; @_ZN7rocprim17ROCPRIM_400000_NS6detail17trampoline_kernelINS0_14default_configENS1_22reduce_config_selectorIN6thrust23THRUST_200600_302600_NS5tupleIbffNS6_9null_typeES8_S8_S8_S8_S8_S8_EEEEZNS1_11reduce_implILb1ES3_NS6_11hip_rocprim26transform_input_iterator_tIS9_NS6_12zip_iteratorINS7_INS6_17counting_iteratorIiNS6_11use_defaultESG_SG_EENS6_6detail15normal_iteratorINS6_10device_ptrIfEEEES8_S8_S8_S8_S8_S8_S8_S8_EEEE15transform_tupleIifEEEPS9_S9_12reduce_tupleIifEEE10hipError_tPvRmT1_T2_T3_mT4_P12ihipStream_tbEUlT_E1_NS1_11comp_targetILNS1_3genE10ELNS1_11target_archE1201ELNS1_3gpuE5ELNS1_3repE0EEENS1_30default_config_static_selectorELNS0_4arch9wavefront6targetE0EEEvSY_
; %bb.0:
	.section	.rodata,"a",@progbits
	.p2align	6, 0x0
	.amdhsa_kernel _ZN7rocprim17ROCPRIM_400000_NS6detail17trampoline_kernelINS0_14default_configENS1_22reduce_config_selectorIN6thrust23THRUST_200600_302600_NS5tupleIbffNS6_9null_typeES8_S8_S8_S8_S8_S8_EEEEZNS1_11reduce_implILb1ES3_NS6_11hip_rocprim26transform_input_iterator_tIS9_NS6_12zip_iteratorINS7_INS6_17counting_iteratorIiNS6_11use_defaultESG_SG_EENS6_6detail15normal_iteratorINS6_10device_ptrIfEEEES8_S8_S8_S8_S8_S8_S8_S8_EEEE15transform_tupleIifEEEPS9_S9_12reduce_tupleIifEEE10hipError_tPvRmT1_T2_T3_mT4_P12ihipStream_tbEUlT_E1_NS1_11comp_targetILNS1_3genE10ELNS1_11target_archE1201ELNS1_3gpuE5ELNS1_3repE0EEENS1_30default_config_static_selectorELNS0_4arch9wavefront6targetE0EEEvSY_
		.amdhsa_group_segment_fixed_size 0
		.amdhsa_private_segment_fixed_size 0
		.amdhsa_kernarg_size 64
		.amdhsa_user_sgpr_count 15
		.amdhsa_user_sgpr_dispatch_ptr 0
		.amdhsa_user_sgpr_queue_ptr 0
		.amdhsa_user_sgpr_kernarg_segment_ptr 1
		.amdhsa_user_sgpr_dispatch_id 0
		.amdhsa_user_sgpr_private_segment_size 0
		.amdhsa_wavefront_size32 1
		.amdhsa_uses_dynamic_stack 0
		.amdhsa_enable_private_segment 0
		.amdhsa_system_sgpr_workgroup_id_x 1
		.amdhsa_system_sgpr_workgroup_id_y 0
		.amdhsa_system_sgpr_workgroup_id_z 0
		.amdhsa_system_sgpr_workgroup_info 0
		.amdhsa_system_vgpr_workitem_id 0
		.amdhsa_next_free_vgpr 1
		.amdhsa_next_free_sgpr 1
		.amdhsa_reserve_vcc 0
		.amdhsa_float_round_mode_32 0
		.amdhsa_float_round_mode_16_64 0
		.amdhsa_float_denorm_mode_32 3
		.amdhsa_float_denorm_mode_16_64 3
		.amdhsa_dx10_clamp 1
		.amdhsa_ieee_mode 1
		.amdhsa_fp16_overflow 0
		.amdhsa_workgroup_processor_mode 1
		.amdhsa_memory_ordered 1
		.amdhsa_forward_progress 0
		.amdhsa_shared_vgpr_count 0
		.amdhsa_exception_fp_ieee_invalid_op 0
		.amdhsa_exception_fp_denorm_src 0
		.amdhsa_exception_fp_ieee_div_zero 0
		.amdhsa_exception_fp_ieee_overflow 0
		.amdhsa_exception_fp_ieee_underflow 0
		.amdhsa_exception_fp_ieee_inexact 0
		.amdhsa_exception_int_div_zero 0
	.end_amdhsa_kernel
	.section	.text._ZN7rocprim17ROCPRIM_400000_NS6detail17trampoline_kernelINS0_14default_configENS1_22reduce_config_selectorIN6thrust23THRUST_200600_302600_NS5tupleIbffNS6_9null_typeES8_S8_S8_S8_S8_S8_EEEEZNS1_11reduce_implILb1ES3_NS6_11hip_rocprim26transform_input_iterator_tIS9_NS6_12zip_iteratorINS7_INS6_17counting_iteratorIiNS6_11use_defaultESG_SG_EENS6_6detail15normal_iteratorINS6_10device_ptrIfEEEES8_S8_S8_S8_S8_S8_S8_S8_EEEE15transform_tupleIifEEEPS9_S9_12reduce_tupleIifEEE10hipError_tPvRmT1_T2_T3_mT4_P12ihipStream_tbEUlT_E1_NS1_11comp_targetILNS1_3genE10ELNS1_11target_archE1201ELNS1_3gpuE5ELNS1_3repE0EEENS1_30default_config_static_selectorELNS0_4arch9wavefront6targetE0EEEvSY_,"axG",@progbits,_ZN7rocprim17ROCPRIM_400000_NS6detail17trampoline_kernelINS0_14default_configENS1_22reduce_config_selectorIN6thrust23THRUST_200600_302600_NS5tupleIbffNS6_9null_typeES8_S8_S8_S8_S8_S8_EEEEZNS1_11reduce_implILb1ES3_NS6_11hip_rocprim26transform_input_iterator_tIS9_NS6_12zip_iteratorINS7_INS6_17counting_iteratorIiNS6_11use_defaultESG_SG_EENS6_6detail15normal_iteratorINS6_10device_ptrIfEEEES8_S8_S8_S8_S8_S8_S8_S8_EEEE15transform_tupleIifEEEPS9_S9_12reduce_tupleIifEEE10hipError_tPvRmT1_T2_T3_mT4_P12ihipStream_tbEUlT_E1_NS1_11comp_targetILNS1_3genE10ELNS1_11target_archE1201ELNS1_3gpuE5ELNS1_3repE0EEENS1_30default_config_static_selectorELNS0_4arch9wavefront6targetE0EEEvSY_,comdat
.Lfunc_end33:
	.size	_ZN7rocprim17ROCPRIM_400000_NS6detail17trampoline_kernelINS0_14default_configENS1_22reduce_config_selectorIN6thrust23THRUST_200600_302600_NS5tupleIbffNS6_9null_typeES8_S8_S8_S8_S8_S8_EEEEZNS1_11reduce_implILb1ES3_NS6_11hip_rocprim26transform_input_iterator_tIS9_NS6_12zip_iteratorINS7_INS6_17counting_iteratorIiNS6_11use_defaultESG_SG_EENS6_6detail15normal_iteratorINS6_10device_ptrIfEEEES8_S8_S8_S8_S8_S8_S8_S8_EEEE15transform_tupleIifEEEPS9_S9_12reduce_tupleIifEEE10hipError_tPvRmT1_T2_T3_mT4_P12ihipStream_tbEUlT_E1_NS1_11comp_targetILNS1_3genE10ELNS1_11target_archE1201ELNS1_3gpuE5ELNS1_3repE0EEENS1_30default_config_static_selectorELNS0_4arch9wavefront6targetE0EEEvSY_, .Lfunc_end33-_ZN7rocprim17ROCPRIM_400000_NS6detail17trampoline_kernelINS0_14default_configENS1_22reduce_config_selectorIN6thrust23THRUST_200600_302600_NS5tupleIbffNS6_9null_typeES8_S8_S8_S8_S8_S8_EEEEZNS1_11reduce_implILb1ES3_NS6_11hip_rocprim26transform_input_iterator_tIS9_NS6_12zip_iteratorINS7_INS6_17counting_iteratorIiNS6_11use_defaultESG_SG_EENS6_6detail15normal_iteratorINS6_10device_ptrIfEEEES8_S8_S8_S8_S8_S8_S8_S8_EEEE15transform_tupleIifEEEPS9_S9_12reduce_tupleIifEEE10hipError_tPvRmT1_T2_T3_mT4_P12ihipStream_tbEUlT_E1_NS1_11comp_targetILNS1_3genE10ELNS1_11target_archE1201ELNS1_3gpuE5ELNS1_3repE0EEENS1_30default_config_static_selectorELNS0_4arch9wavefront6targetE0EEEvSY_
                                        ; -- End function
	.section	.AMDGPU.csdata,"",@progbits
; Kernel info:
; codeLenInByte = 0
; NumSgprs: 0
; NumVgprs: 0
; ScratchSize: 0
; MemoryBound: 0
; FloatMode: 240
; IeeeMode: 1
; LDSByteSize: 0 bytes/workgroup (compile time only)
; SGPRBlocks: 0
; VGPRBlocks: 0
; NumSGPRsForWavesPerEU: 1
; NumVGPRsForWavesPerEU: 1
; Occupancy: 16
; WaveLimiterHint : 0
; COMPUTE_PGM_RSRC2:SCRATCH_EN: 0
; COMPUTE_PGM_RSRC2:USER_SGPR: 15
; COMPUTE_PGM_RSRC2:TRAP_HANDLER: 0
; COMPUTE_PGM_RSRC2:TGID_X_EN: 1
; COMPUTE_PGM_RSRC2:TGID_Y_EN: 0
; COMPUTE_PGM_RSRC2:TGID_Z_EN: 0
; COMPUTE_PGM_RSRC2:TIDIG_COMP_CNT: 0
	.section	.text._ZN7rocprim17ROCPRIM_400000_NS6detail17trampoline_kernelINS0_14default_configENS1_22reduce_config_selectorIN6thrust23THRUST_200600_302600_NS5tupleIbffNS6_9null_typeES8_S8_S8_S8_S8_S8_EEEEZNS1_11reduce_implILb1ES3_NS6_11hip_rocprim26transform_input_iterator_tIS9_NS6_12zip_iteratorINS7_INS6_17counting_iteratorIiNS6_11use_defaultESG_SG_EENS6_6detail15normal_iteratorINS6_10device_ptrIfEEEES8_S8_S8_S8_S8_S8_S8_S8_EEEE15transform_tupleIifEEEPS9_S9_12reduce_tupleIifEEE10hipError_tPvRmT1_T2_T3_mT4_P12ihipStream_tbEUlT_E1_NS1_11comp_targetILNS1_3genE10ELNS1_11target_archE1200ELNS1_3gpuE4ELNS1_3repE0EEENS1_30default_config_static_selectorELNS0_4arch9wavefront6targetE0EEEvSY_,"axG",@progbits,_ZN7rocprim17ROCPRIM_400000_NS6detail17trampoline_kernelINS0_14default_configENS1_22reduce_config_selectorIN6thrust23THRUST_200600_302600_NS5tupleIbffNS6_9null_typeES8_S8_S8_S8_S8_S8_EEEEZNS1_11reduce_implILb1ES3_NS6_11hip_rocprim26transform_input_iterator_tIS9_NS6_12zip_iteratorINS7_INS6_17counting_iteratorIiNS6_11use_defaultESG_SG_EENS6_6detail15normal_iteratorINS6_10device_ptrIfEEEES8_S8_S8_S8_S8_S8_S8_S8_EEEE15transform_tupleIifEEEPS9_S9_12reduce_tupleIifEEE10hipError_tPvRmT1_T2_T3_mT4_P12ihipStream_tbEUlT_E1_NS1_11comp_targetILNS1_3genE10ELNS1_11target_archE1200ELNS1_3gpuE4ELNS1_3repE0EEENS1_30default_config_static_selectorELNS0_4arch9wavefront6targetE0EEEvSY_,comdat
	.protected	_ZN7rocprim17ROCPRIM_400000_NS6detail17trampoline_kernelINS0_14default_configENS1_22reduce_config_selectorIN6thrust23THRUST_200600_302600_NS5tupleIbffNS6_9null_typeES8_S8_S8_S8_S8_S8_EEEEZNS1_11reduce_implILb1ES3_NS6_11hip_rocprim26transform_input_iterator_tIS9_NS6_12zip_iteratorINS7_INS6_17counting_iteratorIiNS6_11use_defaultESG_SG_EENS6_6detail15normal_iteratorINS6_10device_ptrIfEEEES8_S8_S8_S8_S8_S8_S8_S8_EEEE15transform_tupleIifEEEPS9_S9_12reduce_tupleIifEEE10hipError_tPvRmT1_T2_T3_mT4_P12ihipStream_tbEUlT_E1_NS1_11comp_targetILNS1_3genE10ELNS1_11target_archE1200ELNS1_3gpuE4ELNS1_3repE0EEENS1_30default_config_static_selectorELNS0_4arch9wavefront6targetE0EEEvSY_ ; -- Begin function _ZN7rocprim17ROCPRIM_400000_NS6detail17trampoline_kernelINS0_14default_configENS1_22reduce_config_selectorIN6thrust23THRUST_200600_302600_NS5tupleIbffNS6_9null_typeES8_S8_S8_S8_S8_S8_EEEEZNS1_11reduce_implILb1ES3_NS6_11hip_rocprim26transform_input_iterator_tIS9_NS6_12zip_iteratorINS7_INS6_17counting_iteratorIiNS6_11use_defaultESG_SG_EENS6_6detail15normal_iteratorINS6_10device_ptrIfEEEES8_S8_S8_S8_S8_S8_S8_S8_EEEE15transform_tupleIifEEEPS9_S9_12reduce_tupleIifEEE10hipError_tPvRmT1_T2_T3_mT4_P12ihipStream_tbEUlT_E1_NS1_11comp_targetILNS1_3genE10ELNS1_11target_archE1200ELNS1_3gpuE4ELNS1_3repE0EEENS1_30default_config_static_selectorELNS0_4arch9wavefront6targetE0EEEvSY_
	.globl	_ZN7rocprim17ROCPRIM_400000_NS6detail17trampoline_kernelINS0_14default_configENS1_22reduce_config_selectorIN6thrust23THRUST_200600_302600_NS5tupleIbffNS6_9null_typeES8_S8_S8_S8_S8_S8_EEEEZNS1_11reduce_implILb1ES3_NS6_11hip_rocprim26transform_input_iterator_tIS9_NS6_12zip_iteratorINS7_INS6_17counting_iteratorIiNS6_11use_defaultESG_SG_EENS6_6detail15normal_iteratorINS6_10device_ptrIfEEEES8_S8_S8_S8_S8_S8_S8_S8_EEEE15transform_tupleIifEEEPS9_S9_12reduce_tupleIifEEE10hipError_tPvRmT1_T2_T3_mT4_P12ihipStream_tbEUlT_E1_NS1_11comp_targetILNS1_3genE10ELNS1_11target_archE1200ELNS1_3gpuE4ELNS1_3repE0EEENS1_30default_config_static_selectorELNS0_4arch9wavefront6targetE0EEEvSY_
	.p2align	8
	.type	_ZN7rocprim17ROCPRIM_400000_NS6detail17trampoline_kernelINS0_14default_configENS1_22reduce_config_selectorIN6thrust23THRUST_200600_302600_NS5tupleIbffNS6_9null_typeES8_S8_S8_S8_S8_S8_EEEEZNS1_11reduce_implILb1ES3_NS6_11hip_rocprim26transform_input_iterator_tIS9_NS6_12zip_iteratorINS7_INS6_17counting_iteratorIiNS6_11use_defaultESG_SG_EENS6_6detail15normal_iteratorINS6_10device_ptrIfEEEES8_S8_S8_S8_S8_S8_S8_S8_EEEE15transform_tupleIifEEEPS9_S9_12reduce_tupleIifEEE10hipError_tPvRmT1_T2_T3_mT4_P12ihipStream_tbEUlT_E1_NS1_11comp_targetILNS1_3genE10ELNS1_11target_archE1200ELNS1_3gpuE4ELNS1_3repE0EEENS1_30default_config_static_selectorELNS0_4arch9wavefront6targetE0EEEvSY_,@function
_ZN7rocprim17ROCPRIM_400000_NS6detail17trampoline_kernelINS0_14default_configENS1_22reduce_config_selectorIN6thrust23THRUST_200600_302600_NS5tupleIbffNS6_9null_typeES8_S8_S8_S8_S8_S8_EEEEZNS1_11reduce_implILb1ES3_NS6_11hip_rocprim26transform_input_iterator_tIS9_NS6_12zip_iteratorINS7_INS6_17counting_iteratorIiNS6_11use_defaultESG_SG_EENS6_6detail15normal_iteratorINS6_10device_ptrIfEEEES8_S8_S8_S8_S8_S8_S8_S8_EEEE15transform_tupleIifEEEPS9_S9_12reduce_tupleIifEEE10hipError_tPvRmT1_T2_T3_mT4_P12ihipStream_tbEUlT_E1_NS1_11comp_targetILNS1_3genE10ELNS1_11target_archE1200ELNS1_3gpuE4ELNS1_3repE0EEENS1_30default_config_static_selectorELNS0_4arch9wavefront6targetE0EEEvSY_: ; @_ZN7rocprim17ROCPRIM_400000_NS6detail17trampoline_kernelINS0_14default_configENS1_22reduce_config_selectorIN6thrust23THRUST_200600_302600_NS5tupleIbffNS6_9null_typeES8_S8_S8_S8_S8_S8_EEEEZNS1_11reduce_implILb1ES3_NS6_11hip_rocprim26transform_input_iterator_tIS9_NS6_12zip_iteratorINS7_INS6_17counting_iteratorIiNS6_11use_defaultESG_SG_EENS6_6detail15normal_iteratorINS6_10device_ptrIfEEEES8_S8_S8_S8_S8_S8_S8_S8_EEEE15transform_tupleIifEEEPS9_S9_12reduce_tupleIifEEE10hipError_tPvRmT1_T2_T3_mT4_P12ihipStream_tbEUlT_E1_NS1_11comp_targetILNS1_3genE10ELNS1_11target_archE1200ELNS1_3gpuE4ELNS1_3repE0EEENS1_30default_config_static_selectorELNS0_4arch9wavefront6targetE0EEEvSY_
; %bb.0:
	.section	.rodata,"a",@progbits
	.p2align	6, 0x0
	.amdhsa_kernel _ZN7rocprim17ROCPRIM_400000_NS6detail17trampoline_kernelINS0_14default_configENS1_22reduce_config_selectorIN6thrust23THRUST_200600_302600_NS5tupleIbffNS6_9null_typeES8_S8_S8_S8_S8_S8_EEEEZNS1_11reduce_implILb1ES3_NS6_11hip_rocprim26transform_input_iterator_tIS9_NS6_12zip_iteratorINS7_INS6_17counting_iteratorIiNS6_11use_defaultESG_SG_EENS6_6detail15normal_iteratorINS6_10device_ptrIfEEEES8_S8_S8_S8_S8_S8_S8_S8_EEEE15transform_tupleIifEEEPS9_S9_12reduce_tupleIifEEE10hipError_tPvRmT1_T2_T3_mT4_P12ihipStream_tbEUlT_E1_NS1_11comp_targetILNS1_3genE10ELNS1_11target_archE1200ELNS1_3gpuE4ELNS1_3repE0EEENS1_30default_config_static_selectorELNS0_4arch9wavefront6targetE0EEEvSY_
		.amdhsa_group_segment_fixed_size 0
		.amdhsa_private_segment_fixed_size 0
		.amdhsa_kernarg_size 64
		.amdhsa_user_sgpr_count 15
		.amdhsa_user_sgpr_dispatch_ptr 0
		.amdhsa_user_sgpr_queue_ptr 0
		.amdhsa_user_sgpr_kernarg_segment_ptr 1
		.amdhsa_user_sgpr_dispatch_id 0
		.amdhsa_user_sgpr_private_segment_size 0
		.amdhsa_wavefront_size32 1
		.amdhsa_uses_dynamic_stack 0
		.amdhsa_enable_private_segment 0
		.amdhsa_system_sgpr_workgroup_id_x 1
		.amdhsa_system_sgpr_workgroup_id_y 0
		.amdhsa_system_sgpr_workgroup_id_z 0
		.amdhsa_system_sgpr_workgroup_info 0
		.amdhsa_system_vgpr_workitem_id 0
		.amdhsa_next_free_vgpr 1
		.amdhsa_next_free_sgpr 1
		.amdhsa_reserve_vcc 0
		.amdhsa_float_round_mode_32 0
		.amdhsa_float_round_mode_16_64 0
		.amdhsa_float_denorm_mode_32 3
		.amdhsa_float_denorm_mode_16_64 3
		.amdhsa_dx10_clamp 1
		.amdhsa_ieee_mode 1
		.amdhsa_fp16_overflow 0
		.amdhsa_workgroup_processor_mode 1
		.amdhsa_memory_ordered 1
		.amdhsa_forward_progress 0
		.amdhsa_shared_vgpr_count 0
		.amdhsa_exception_fp_ieee_invalid_op 0
		.amdhsa_exception_fp_denorm_src 0
		.amdhsa_exception_fp_ieee_div_zero 0
		.amdhsa_exception_fp_ieee_overflow 0
		.amdhsa_exception_fp_ieee_underflow 0
		.amdhsa_exception_fp_ieee_inexact 0
		.amdhsa_exception_int_div_zero 0
	.end_amdhsa_kernel
	.section	.text._ZN7rocprim17ROCPRIM_400000_NS6detail17trampoline_kernelINS0_14default_configENS1_22reduce_config_selectorIN6thrust23THRUST_200600_302600_NS5tupleIbffNS6_9null_typeES8_S8_S8_S8_S8_S8_EEEEZNS1_11reduce_implILb1ES3_NS6_11hip_rocprim26transform_input_iterator_tIS9_NS6_12zip_iteratorINS7_INS6_17counting_iteratorIiNS6_11use_defaultESG_SG_EENS6_6detail15normal_iteratorINS6_10device_ptrIfEEEES8_S8_S8_S8_S8_S8_S8_S8_EEEE15transform_tupleIifEEEPS9_S9_12reduce_tupleIifEEE10hipError_tPvRmT1_T2_T3_mT4_P12ihipStream_tbEUlT_E1_NS1_11comp_targetILNS1_3genE10ELNS1_11target_archE1200ELNS1_3gpuE4ELNS1_3repE0EEENS1_30default_config_static_selectorELNS0_4arch9wavefront6targetE0EEEvSY_,"axG",@progbits,_ZN7rocprim17ROCPRIM_400000_NS6detail17trampoline_kernelINS0_14default_configENS1_22reduce_config_selectorIN6thrust23THRUST_200600_302600_NS5tupleIbffNS6_9null_typeES8_S8_S8_S8_S8_S8_EEEEZNS1_11reduce_implILb1ES3_NS6_11hip_rocprim26transform_input_iterator_tIS9_NS6_12zip_iteratorINS7_INS6_17counting_iteratorIiNS6_11use_defaultESG_SG_EENS6_6detail15normal_iteratorINS6_10device_ptrIfEEEES8_S8_S8_S8_S8_S8_S8_S8_EEEE15transform_tupleIifEEEPS9_S9_12reduce_tupleIifEEE10hipError_tPvRmT1_T2_T3_mT4_P12ihipStream_tbEUlT_E1_NS1_11comp_targetILNS1_3genE10ELNS1_11target_archE1200ELNS1_3gpuE4ELNS1_3repE0EEENS1_30default_config_static_selectorELNS0_4arch9wavefront6targetE0EEEvSY_,comdat
.Lfunc_end34:
	.size	_ZN7rocprim17ROCPRIM_400000_NS6detail17trampoline_kernelINS0_14default_configENS1_22reduce_config_selectorIN6thrust23THRUST_200600_302600_NS5tupleIbffNS6_9null_typeES8_S8_S8_S8_S8_S8_EEEEZNS1_11reduce_implILb1ES3_NS6_11hip_rocprim26transform_input_iterator_tIS9_NS6_12zip_iteratorINS7_INS6_17counting_iteratorIiNS6_11use_defaultESG_SG_EENS6_6detail15normal_iteratorINS6_10device_ptrIfEEEES8_S8_S8_S8_S8_S8_S8_S8_EEEE15transform_tupleIifEEEPS9_S9_12reduce_tupleIifEEE10hipError_tPvRmT1_T2_T3_mT4_P12ihipStream_tbEUlT_E1_NS1_11comp_targetILNS1_3genE10ELNS1_11target_archE1200ELNS1_3gpuE4ELNS1_3repE0EEENS1_30default_config_static_selectorELNS0_4arch9wavefront6targetE0EEEvSY_, .Lfunc_end34-_ZN7rocprim17ROCPRIM_400000_NS6detail17trampoline_kernelINS0_14default_configENS1_22reduce_config_selectorIN6thrust23THRUST_200600_302600_NS5tupleIbffNS6_9null_typeES8_S8_S8_S8_S8_S8_EEEEZNS1_11reduce_implILb1ES3_NS6_11hip_rocprim26transform_input_iterator_tIS9_NS6_12zip_iteratorINS7_INS6_17counting_iteratorIiNS6_11use_defaultESG_SG_EENS6_6detail15normal_iteratorINS6_10device_ptrIfEEEES8_S8_S8_S8_S8_S8_S8_S8_EEEE15transform_tupleIifEEEPS9_S9_12reduce_tupleIifEEE10hipError_tPvRmT1_T2_T3_mT4_P12ihipStream_tbEUlT_E1_NS1_11comp_targetILNS1_3genE10ELNS1_11target_archE1200ELNS1_3gpuE4ELNS1_3repE0EEENS1_30default_config_static_selectorELNS0_4arch9wavefront6targetE0EEEvSY_
                                        ; -- End function
	.section	.AMDGPU.csdata,"",@progbits
; Kernel info:
; codeLenInByte = 0
; NumSgprs: 0
; NumVgprs: 0
; ScratchSize: 0
; MemoryBound: 0
; FloatMode: 240
; IeeeMode: 1
; LDSByteSize: 0 bytes/workgroup (compile time only)
; SGPRBlocks: 0
; VGPRBlocks: 0
; NumSGPRsForWavesPerEU: 1
; NumVGPRsForWavesPerEU: 1
; Occupancy: 16
; WaveLimiterHint : 0
; COMPUTE_PGM_RSRC2:SCRATCH_EN: 0
; COMPUTE_PGM_RSRC2:USER_SGPR: 15
; COMPUTE_PGM_RSRC2:TRAP_HANDLER: 0
; COMPUTE_PGM_RSRC2:TGID_X_EN: 1
; COMPUTE_PGM_RSRC2:TGID_Y_EN: 0
; COMPUTE_PGM_RSRC2:TGID_Z_EN: 0
; COMPUTE_PGM_RSRC2:TIDIG_COMP_CNT: 0
	.section	.text._ZN7rocprim17ROCPRIM_400000_NS6detail17trampoline_kernelINS0_14default_configENS1_22reduce_config_selectorIN6thrust23THRUST_200600_302600_NS5tupleIbffNS6_9null_typeES8_S8_S8_S8_S8_S8_EEEEZNS1_11reduce_implILb1ES3_NS6_11hip_rocprim26transform_input_iterator_tIS9_NS6_12zip_iteratorINS7_INS6_17counting_iteratorIiNS6_11use_defaultESG_SG_EENS6_6detail15normal_iteratorINS6_10device_ptrIfEEEES8_S8_S8_S8_S8_S8_S8_S8_EEEE15transform_tupleIifEEEPS9_S9_12reduce_tupleIifEEE10hipError_tPvRmT1_T2_T3_mT4_P12ihipStream_tbEUlT_E1_NS1_11comp_targetILNS1_3genE9ELNS1_11target_archE1100ELNS1_3gpuE3ELNS1_3repE0EEENS1_30default_config_static_selectorELNS0_4arch9wavefront6targetE0EEEvSY_,"axG",@progbits,_ZN7rocprim17ROCPRIM_400000_NS6detail17trampoline_kernelINS0_14default_configENS1_22reduce_config_selectorIN6thrust23THRUST_200600_302600_NS5tupleIbffNS6_9null_typeES8_S8_S8_S8_S8_S8_EEEEZNS1_11reduce_implILb1ES3_NS6_11hip_rocprim26transform_input_iterator_tIS9_NS6_12zip_iteratorINS7_INS6_17counting_iteratorIiNS6_11use_defaultESG_SG_EENS6_6detail15normal_iteratorINS6_10device_ptrIfEEEES8_S8_S8_S8_S8_S8_S8_S8_EEEE15transform_tupleIifEEEPS9_S9_12reduce_tupleIifEEE10hipError_tPvRmT1_T2_T3_mT4_P12ihipStream_tbEUlT_E1_NS1_11comp_targetILNS1_3genE9ELNS1_11target_archE1100ELNS1_3gpuE3ELNS1_3repE0EEENS1_30default_config_static_selectorELNS0_4arch9wavefront6targetE0EEEvSY_,comdat
	.protected	_ZN7rocprim17ROCPRIM_400000_NS6detail17trampoline_kernelINS0_14default_configENS1_22reduce_config_selectorIN6thrust23THRUST_200600_302600_NS5tupleIbffNS6_9null_typeES8_S8_S8_S8_S8_S8_EEEEZNS1_11reduce_implILb1ES3_NS6_11hip_rocprim26transform_input_iterator_tIS9_NS6_12zip_iteratorINS7_INS6_17counting_iteratorIiNS6_11use_defaultESG_SG_EENS6_6detail15normal_iteratorINS6_10device_ptrIfEEEES8_S8_S8_S8_S8_S8_S8_S8_EEEE15transform_tupleIifEEEPS9_S9_12reduce_tupleIifEEE10hipError_tPvRmT1_T2_T3_mT4_P12ihipStream_tbEUlT_E1_NS1_11comp_targetILNS1_3genE9ELNS1_11target_archE1100ELNS1_3gpuE3ELNS1_3repE0EEENS1_30default_config_static_selectorELNS0_4arch9wavefront6targetE0EEEvSY_ ; -- Begin function _ZN7rocprim17ROCPRIM_400000_NS6detail17trampoline_kernelINS0_14default_configENS1_22reduce_config_selectorIN6thrust23THRUST_200600_302600_NS5tupleIbffNS6_9null_typeES8_S8_S8_S8_S8_S8_EEEEZNS1_11reduce_implILb1ES3_NS6_11hip_rocprim26transform_input_iterator_tIS9_NS6_12zip_iteratorINS7_INS6_17counting_iteratorIiNS6_11use_defaultESG_SG_EENS6_6detail15normal_iteratorINS6_10device_ptrIfEEEES8_S8_S8_S8_S8_S8_S8_S8_EEEE15transform_tupleIifEEEPS9_S9_12reduce_tupleIifEEE10hipError_tPvRmT1_T2_T3_mT4_P12ihipStream_tbEUlT_E1_NS1_11comp_targetILNS1_3genE9ELNS1_11target_archE1100ELNS1_3gpuE3ELNS1_3repE0EEENS1_30default_config_static_selectorELNS0_4arch9wavefront6targetE0EEEvSY_
	.globl	_ZN7rocprim17ROCPRIM_400000_NS6detail17trampoline_kernelINS0_14default_configENS1_22reduce_config_selectorIN6thrust23THRUST_200600_302600_NS5tupleIbffNS6_9null_typeES8_S8_S8_S8_S8_S8_EEEEZNS1_11reduce_implILb1ES3_NS6_11hip_rocprim26transform_input_iterator_tIS9_NS6_12zip_iteratorINS7_INS6_17counting_iteratorIiNS6_11use_defaultESG_SG_EENS6_6detail15normal_iteratorINS6_10device_ptrIfEEEES8_S8_S8_S8_S8_S8_S8_S8_EEEE15transform_tupleIifEEEPS9_S9_12reduce_tupleIifEEE10hipError_tPvRmT1_T2_T3_mT4_P12ihipStream_tbEUlT_E1_NS1_11comp_targetILNS1_3genE9ELNS1_11target_archE1100ELNS1_3gpuE3ELNS1_3repE0EEENS1_30default_config_static_selectorELNS0_4arch9wavefront6targetE0EEEvSY_
	.p2align	8
	.type	_ZN7rocprim17ROCPRIM_400000_NS6detail17trampoline_kernelINS0_14default_configENS1_22reduce_config_selectorIN6thrust23THRUST_200600_302600_NS5tupleIbffNS6_9null_typeES8_S8_S8_S8_S8_S8_EEEEZNS1_11reduce_implILb1ES3_NS6_11hip_rocprim26transform_input_iterator_tIS9_NS6_12zip_iteratorINS7_INS6_17counting_iteratorIiNS6_11use_defaultESG_SG_EENS6_6detail15normal_iteratorINS6_10device_ptrIfEEEES8_S8_S8_S8_S8_S8_S8_S8_EEEE15transform_tupleIifEEEPS9_S9_12reduce_tupleIifEEE10hipError_tPvRmT1_T2_T3_mT4_P12ihipStream_tbEUlT_E1_NS1_11comp_targetILNS1_3genE9ELNS1_11target_archE1100ELNS1_3gpuE3ELNS1_3repE0EEENS1_30default_config_static_selectorELNS0_4arch9wavefront6targetE0EEEvSY_,@function
_ZN7rocprim17ROCPRIM_400000_NS6detail17trampoline_kernelINS0_14default_configENS1_22reduce_config_selectorIN6thrust23THRUST_200600_302600_NS5tupleIbffNS6_9null_typeES8_S8_S8_S8_S8_S8_EEEEZNS1_11reduce_implILb1ES3_NS6_11hip_rocprim26transform_input_iterator_tIS9_NS6_12zip_iteratorINS7_INS6_17counting_iteratorIiNS6_11use_defaultESG_SG_EENS6_6detail15normal_iteratorINS6_10device_ptrIfEEEES8_S8_S8_S8_S8_S8_S8_S8_EEEE15transform_tupleIifEEEPS9_S9_12reduce_tupleIifEEE10hipError_tPvRmT1_T2_T3_mT4_P12ihipStream_tbEUlT_E1_NS1_11comp_targetILNS1_3genE9ELNS1_11target_archE1100ELNS1_3gpuE3ELNS1_3repE0EEENS1_30default_config_static_selectorELNS0_4arch9wavefront6targetE0EEEvSY_: ; @_ZN7rocprim17ROCPRIM_400000_NS6detail17trampoline_kernelINS0_14default_configENS1_22reduce_config_selectorIN6thrust23THRUST_200600_302600_NS5tupleIbffNS6_9null_typeES8_S8_S8_S8_S8_S8_EEEEZNS1_11reduce_implILb1ES3_NS6_11hip_rocprim26transform_input_iterator_tIS9_NS6_12zip_iteratorINS7_INS6_17counting_iteratorIiNS6_11use_defaultESG_SG_EENS6_6detail15normal_iteratorINS6_10device_ptrIfEEEES8_S8_S8_S8_S8_S8_S8_S8_EEEE15transform_tupleIifEEEPS9_S9_12reduce_tupleIifEEE10hipError_tPvRmT1_T2_T3_mT4_P12ihipStream_tbEUlT_E1_NS1_11comp_targetILNS1_3genE9ELNS1_11target_archE1100ELNS1_3gpuE3ELNS1_3repE0EEENS1_30default_config_static_selectorELNS0_4arch9wavefront6targetE0EEEvSY_
; %bb.0:
	s_clause 0x3
	s_load_b64 s[28:29], s[0:1], 0x4
	s_load_b256 s[16:23], s[0:1], 0x10
	s_load_b32 s30, s[0:1], 0x30
	s_load_b64 s[26:27], s[0:1], 0x34
	s_mov_b32 s24, s15
	s_waitcnt lgkmcnt(0)
	s_cmp_lt_i32 s28, 4
	s_cbranch_scc1 .LBB35_44
; %bb.1:
	s_cmp_gt_i32 s28, 7
	s_cbranch_scc0 .LBB35_45
; %bb.2:
	s_cmp_gt_i32 s28, 15
	s_cbranch_scc0 .LBB35_46
; %bb.3:
	s_cmp_eq_u32 s28, 16
	s_mov_b32 s31, 0
	s_cbranch_scc0 .LBB35_47
; %bb.4:
	s_mov_b32 s25, 0
	s_lshl_b32 s10, s24, 12
	s_mov_b32 s11, s25
	s_lshr_b64 s[0:1], s[20:21], 12
	s_lshl_b64 s[2:3], s[10:11], 2
	s_add_i32 s33, s29, s10
	s_add_u32 s14, s16, s2
	s_addc_u32 s15, s17, s3
	s_cmp_lg_u64 s[0:1], s[24:25]
	s_cbranch_scc0 .LBB35_90
; %bb.5:
	v_lshlrev_b32_e32 v11, 2, v0
	s_abs_i32 s9, s19
	s_delay_alu instid0(VALU_DEP_1) | instskip(NEXT) | instid1(VALU_DEP_1)
	v_add_co_u32 v7, s0, s14, v11
	v_add_co_ci_u32_e64 v8, null, s15, 0, s0
	s_sub_i32 s0, 0, s9
	s_delay_alu instid0(VALU_DEP_2) | instskip(NEXT) | instid1(VALU_DEP_2)
	v_add_co_u32 v1, vcc_lo, 0x1000, v7
	v_add_co_ci_u32_e32 v2, vcc_lo, 0, v8, vcc_lo
	v_add_co_u32 v3, vcc_lo, v7, 0x2000
	v_add_co_ci_u32_e32 v4, vcc_lo, 0, v8, vcc_lo
	;; [unrolled: 2-line block ×3, first 2 shown]
	global_load_b32 v25, v[3:4], off
	v_add_co_u32 v9, vcc_lo, 0x3000, v7
	v_add_co_ci_u32_e32 v10, vcc_lo, 0, v8, vcc_lo
	s_clause 0xd
	global_load_b32 v36, v11, s[14:15] offset:1024
	global_load_b32 v35, v11, s[14:15] offset:2048
	;; [unrolled: 1-line block ×3, first 2 shown]
	global_load_b32 v29, v[1:2], off offset:1024
	global_load_b32 v28, v[1:2], off offset:2048
	;; [unrolled: 1-line block ×6, first 2 shown]
	global_load_b32 v22, v[9:10], off
	global_load_b32 v21, v[9:10], off offset:1024
	global_load_b32 v20, v[9:10], off offset:2048
	global_load_b32 v33, v[3:4], off offset:-4096
	global_load_b32 v19, v[9:10], off offset:3072
	v_cvt_f32_u32_e32 v1, s9
	v_add_nc_u32_e32 v3, s33, v0
	s_delay_alu instid0(VALU_DEP_2) | instskip(NEXT) | instid1(VALU_DEP_1)
	v_rcp_iflag_f32_e32 v1, v1
	v_add_nc_u32_e32 v4, 0x100, v3
	v_sub_nc_u32_e32 v5, 0, v3
	s_delay_alu instid0(VALU_DEP_2) | instskip(NEXT) | instid1(VALU_DEP_2)
	v_sub_nc_u32_e32 v6, 0, v4
	v_max_i32_e32 v5, v3, v5
	s_waitcnt_depctr 0xfff
	v_mul_f32_e32 v1, 0x4f7ffffe, v1
	s_delay_alu instid0(VALU_DEP_1) | instskip(NEXT) | instid1(VALU_DEP_1)
	v_cvt_u32_f32_e32 v1, v1
	v_mul_lo_u32 v2, s0, v1
	s_delay_alu instid0(VALU_DEP_1) | instskip(NEXT) | instid1(VALU_DEP_1)
	v_mul_hi_u32 v2, v1, v2
	v_add_nc_u32_e32 v44, v1, v2
	v_max_i32_e32 v1, v4, v6
	s_delay_alu instid0(VALU_DEP_2) | instskip(NEXT) | instid1(VALU_DEP_2)
	v_mul_hi_u32 v2, v5, v44
	v_mul_hi_u32 v6, v1, v44
	s_delay_alu instid0(VALU_DEP_2) | instskip(NEXT) | instid1(VALU_DEP_2)
	v_mul_lo_u32 v2, v2, s9
	v_mul_lo_u32 v6, v6, s9
	s_delay_alu instid0(VALU_DEP_2) | instskip(NEXT) | instid1(VALU_DEP_2)
	v_sub_nc_u32_e32 v2, v5, v2
	v_sub_nc_u32_e32 v1, v1, v6
	s_delay_alu instid0(VALU_DEP_2) | instskip(SKIP_1) | instid1(VALU_DEP_3)
	v_subrev_nc_u32_e32 v5, s9, v2
	v_cmp_le_u32_e32 vcc_lo, s9, v2
	v_subrev_nc_u32_e32 v6, s9, v1
	s_delay_alu instid0(VALU_DEP_3) | instskip(SKIP_1) | instid1(VALU_DEP_2)
	v_cndmask_b32_e32 v2, v2, v5, vcc_lo
	v_cmp_le_u32_e32 vcc_lo, s9, v1
	v_subrev_nc_u32_e32 v5, s9, v2
	s_delay_alu instid0(VALU_DEP_4) | instskip(SKIP_2) | instid1(VALU_DEP_3)
	v_cndmask_b32_e32 v1, v1, v6, vcc_lo
	v_cmp_le_u32_e32 vcc_lo, s9, v2
	v_ashrrev_i32_e32 v4, 31, v4
	v_subrev_nc_u32_e32 v9, s9, v1
	v_cndmask_b32_e32 v2, v2, v5, vcc_lo
	v_ashrrev_i32_e32 v6, 31, v3
	v_cmp_le_u32_e32 vcc_lo, s9, v1
	v_add_nc_u32_e32 v5, 0x200, v3
	v_add_nc_u32_e32 v62, 0xe00, v3
	;; [unrolled: 1-line block ×3, first 2 shown]
	v_xor_b32_e32 v2, v2, v6
	v_cndmask_b32_e32 v1, v1, v9, vcc_lo
	v_ashrrev_i32_e32 v54, 31, v5
	s_delay_alu instid0(VALU_DEP_3) | instskip(SKIP_1) | instid1(VALU_DEP_4)
	v_sub_nc_u32_e32 v2, v2, v6
	v_add_nc_u32_e32 v6, 0x300, v3
	v_xor_b32_e32 v1, v1, v4
	s_delay_alu instid0(VALU_DEP_3) | instskip(SKIP_1) | instid1(VALU_DEP_3)
	v_cmp_gt_i32_e64 s0, s18, v2
	v_add_nc_u32_e32 v2, 0x400, v3
	v_sub_nc_u32_e32 v1, v1, v4
	v_sub_nc_u32_e32 v4, 0, v5
	v_ashrrev_i32_e32 v55, 31, v6
	s_delay_alu instid0(VALU_DEP_4) | instskip(NEXT) | instid1(VALU_DEP_4)
	v_ashrrev_i32_e32 v56, 31, v2
	v_cmp_gt_i32_e32 vcc_lo, s18, v1
	v_sub_nc_u32_e32 v1, 0, v6
	v_max_i32_e32 v59, v5, v4
	v_add_nc_u32_e32 v4, 0x500, v3
	v_add_nc_u32_e32 v5, 0x600, v3
	v_cndmask_b32_e64 v41, 0, 1, vcc_lo
	v_max_i32_e32 v60, v6, v1
	v_sub_nc_u32_e32 v1, 0, v2
	v_ashrrev_i32_e32 v50, 31, v4
	v_ashrrev_i32_e32 v48, 31, v5
	v_mad_u64_u32 v[17:18], null, v59, v44, 0
	s_delay_alu instid0(VALU_DEP_4) | instskip(SKIP_3) | instid1(VALU_DEP_4)
	v_max_i32_e32 v61, v2, v1
	v_sub_nc_u32_e32 v1, 0, v4
	v_add_nc_u32_e32 v2, 0x700, v3
	v_mad_u64_u32 v[16:17], null, v60, v44, 0
	v_mad_u64_u32 v[15:16], null, v61, v44, 0
	s_delay_alu instid0(VALU_DEP_4) | instskip(SKIP_3) | instid1(VALU_DEP_4)
	v_max_i32_e32 v58, v4, v1
	v_sub_nc_u32_e32 v1, 0, v5
	v_add_nc_u32_e32 v4, 0x800, v3
	v_ashrrev_i32_e32 v45, 31, v2
	v_mad_u64_u32 v[14:15], null, v58, v44, 0
	s_delay_alu instid0(VALU_DEP_4) | instskip(SKIP_3) | instid1(VALU_DEP_4)
	v_max_i32_e32 v57, v5, v1
	v_sub_nc_u32_e32 v1, 0, v2
	v_ashrrev_i32_e32 v47, 31, v4
	v_add_nc_u32_e32 v5, 0xb00, v3
	v_mad_u64_u32 v[13:14], null, v57, v44, 0
	s_delay_alu instid0(VALU_DEP_4) | instskip(SKIP_3) | instid1(VALU_DEP_4)
	v_max_i32_e32 v53, v2, v1
	v_sub_nc_u32_e32 v1, 0, v4
	v_add_nc_u32_e32 v2, 0x900, v3
	v_ashrrev_i32_e32 v39, 31, v5
	v_mad_u64_u32 v[12:13], null, v53, v44, 0
	s_delay_alu instid0(VALU_DEP_4) | instskip(NEXT) | instid1(VALU_DEP_4)
	v_max_i32_e32 v52, v4, v1
	v_sub_nc_u32_e32 v1, 0, v2
	v_add_nc_u32_e32 v4, 0xa00, v3
	v_ashrrev_i32_e32 v46, 31, v2
	s_delay_alu instid0(VALU_DEP_4) | instskip(NEXT) | instid1(VALU_DEP_4)
	v_mad_u64_u32 v[11:12], null, v52, v44, 0
	v_max_i32_e32 v51, v2, v1
	s_delay_alu instid0(VALU_DEP_4) | instskip(SKIP_2) | instid1(VALU_DEP_4)
	v_sub_nc_u32_e32 v1, 0, v4
	v_sub_nc_u32_e32 v2, 0, v5
	v_ashrrev_i32_e32 v43, 31, v4
	v_mad_u64_u32 v[10:11], null, v51, v44, 0
	s_delay_alu instid0(VALU_DEP_4) | instskip(SKIP_2) | instid1(VALU_DEP_3)
	v_max_i32_e32 v49, v4, v1
	v_add_nc_u32_e32 v1, 0xc00, v3
	v_max_i32_e32 v42, v5, v2
	v_mad_u64_u32 v[9:10], null, v49, v44, 0
	s_delay_alu instid0(VALU_DEP_3)
	v_sub_nc_u32_e32 v2, 0, v1
	v_add_nc_u32_e32 v9, 0xd00, v3
	v_ashrrev_i32_e32 v37, 31, v1
	v_sub_nc_u32_e32 v3, 0, v63
	v_mad_u64_u32 v[5:6], null, v42, v44, 0
	v_max_i32_e32 v40, v1, v2
	v_sub_nc_u32_e32 v1, 0, v9
	v_sub_nc_u32_e32 v2, 0, v62
	v_max_i32_e32 v30, v63, v3
	v_ashrrev_i32_e32 v31, 31, v9
	v_mad_u64_u32 v[4:5], null, v40, v44, 0
	v_max_i32_e32 v38, v9, v1
	v_max_i32_e32 v34, v62, v2
	v_ashrrev_i32_e32 v9, 31, v62
	s_delay_alu instid0(VALU_DEP_3) | instskip(NEXT) | instid1(VALU_DEP_3)
	v_mad_u64_u32 v[3:4], null, v38, v44, 0
	v_mad_u64_u32 v[2:3], null, v34, v44, 0
	v_mad_u64_u32 v[1:2], null, v30, v44, 0
	v_ashrrev_i32_e32 v1, 31, v63
	s_waitcnt vmcnt(13)
	v_mov_b32_e32 v44, v36
	s_and_saveexec_b32 s2, s0
	s_cbranch_execz .LBB35_7
; %bb.6:
	global_load_b32 v7, v[7:8], off
	v_mov_b32_e32 v41, 1
	s_waitcnt vmcnt(0)
	v_cmp_lt_f32_e64 s0, v36, v7
	v_cmp_lt_f32_e64 s1, v7, v36
	s_delay_alu instid0(VALU_DEP_2) | instskip(NEXT) | instid1(VALU_DEP_1)
	s_and_b32 s0, vcc_lo, s0
	s_and_b32 vcc_lo, vcc_lo, s1
	v_cndmask_b32_e64 v8, v7, v36, s0
	v_cndmask_b32_e32 v44, v7, v36, vcc_lo
	s_delay_alu instid0(VALU_DEP_2)
	v_mov_b32_e32 v36, v8
.LBB35_7:
	s_or_b32 exec_lo, exec_lo, s2
	v_mul_lo_u32 v7, v18, s9
	v_mul_lo_u32 v8, v17, s9
	;; [unrolled: 1-line block ×8, first 2 shown]
	v_sub_nc_u32_e32 v7, v59, v7
	v_sub_nc_u32_e32 v8, v60, v8
	;; [unrolled: 1-line block ×5, first 2 shown]
	v_subrev_nc_u32_e32 v17, s9, v7
	v_cmp_le_u32_e32 vcc_lo, s9, v7
	v_subrev_nc_u32_e32 v18, s9, v8
	v_subrev_nc_u32_e32 v59, s9, v16
	v_sub_nc_u32_e32 v13, v53, v13
	v_sub_nc_u32_e32 v12, v52, v12
	v_cndmask_b32_e32 v7, v7, v17, vcc_lo
	v_cmp_le_u32_e32 vcc_lo, s9, v8
	v_sub_nc_u32_e32 v11, v51, v11
	v_mul_lo_u32 v10, v10, s9
	s_waitcnt vmcnt(12)
	v_cmp_lt_f32_e64 s6, v35, v36
	v_mul_lo_u32 v6, v6, s9
	v_cndmask_b32_e32 v8, v8, v18, vcc_lo
	v_cmp_le_u32_e32 vcc_lo, s9, v16
	v_subrev_nc_u32_e32 v17, s9, v7
	v_mul_lo_u32 v5, v5, s9
	v_mul_lo_u32 v4, v4, s9
	v_subrev_nc_u32_e32 v18, s9, v8
	v_cndmask_b32_e32 v16, v16, v59, vcc_lo
	v_cmp_le_u32_e32 vcc_lo, s9, v7
	v_sub_nc_u32_e32 v10, v49, v10
	v_sub_nc_u32_e32 v6, v42, v6
	v_mul_lo_u32 v3, v3, s9
	v_sub_nc_u32_e32 v5, v40, v5
	v_cndmask_b32_e32 v7, v7, v17, vcc_lo
	v_cmp_le_u32_e32 vcc_lo, s9, v8
	v_subrev_nc_u32_e32 v58, s9, v16
	v_subrev_nc_u32_e32 v17, s9, v15
	v_sub_nc_u32_e32 v4, v38, v4
	v_xor_b32_e32 v7, v7, v54
	v_cndmask_b32_e32 v8, v8, v18, vcc_lo
	v_cmp_le_u32_e32 vcc_lo, s9, v16
	v_sub_nc_u32_e32 v3, v34, v3
	v_mul_lo_u32 v2, v2, s9
	v_sub_nc_u32_e32 v7, v7, v54
	v_cndmask_b32_e32 v16, v16, v58, vcc_lo
	v_cmp_le_u32_e32 vcc_lo, s9, v15
	s_delay_alu instid0(VALU_DEP_3) | instskip(SKIP_3) | instid1(VALU_DEP_4)
	v_cmp_gt_i32_e64 s0, s18, v7
	v_sub_nc_u32_e32 v2, v30, v2
	v_cndmask_b32_e32 v15, v15, v17, vcc_lo
	v_xor_b32_e32 v8, v8, v55
	s_and_b32 s6, s0, s6
	v_cndmask_b32_e64 v7, 0, 1, s0
	s_delay_alu instid0(VALU_DEP_3) | instskip(SKIP_2) | instid1(VALU_DEP_3)
	v_subrev_nc_u32_e32 v17, s9, v15
	v_cmp_le_u32_e32 vcc_lo, s9, v15
	v_sub_nc_u32_e32 v8, v8, v55
	v_cndmask_b32_e32 v15, v15, v17, vcc_lo
	v_subrev_nc_u32_e32 v17, s9, v14
	v_cmp_le_u32_e32 vcc_lo, s9, v14
	s_delay_alu instid0(VALU_DEP_4)
	v_cmp_gt_i32_e64 s1, s18, v8
	v_xor_b32_e32 v16, v16, v56
	v_xor_b32_e32 v15, v15, v50
	v_cndmask_b32_e32 v14, v14, v17, vcc_lo
	v_subrev_nc_u32_e32 v17, s9, v13
	v_cmp_le_u32_e32 vcc_lo, s9, v13
	v_cndmask_b32_e64 v8, 0, 1, s1
	v_sub_nc_u32_e32 v16, v16, v56
	v_subrev_nc_u32_e32 v18, s9, v14
	v_sub_nc_u32_e32 v15, v15, v50
	v_cndmask_b32_e32 v13, v13, v17, vcc_lo
	v_cmp_le_u32_e32 vcc_lo, s9, v14
	v_subrev_nc_u32_e32 v17, s9, v12
	v_cmp_gt_i32_e64 s2, s18, v16
	v_cmp_gt_i32_e64 s3, s18, v15
	v_cndmask_b32_e32 v14, v14, v18, vcc_lo
	v_cmp_le_u32_e32 vcc_lo, s9, v12
	v_subrev_nc_u32_e32 v18, s9, v13
	v_cndmask_b32_e64 v16, 0, 1, s2
	v_cndmask_b32_e64 v15, 0, 1, s3
	v_xor_b32_e32 v14, v14, v48
	v_cndmask_b32_e32 v12, v12, v17, vcc_lo
	v_cmp_le_u32_e32 vcc_lo, s9, v13
	v_subrev_nc_u32_e32 v17, s9, v11
	s_delay_alu instid0(VALU_DEP_4) | instskip(SKIP_3) | instid1(VALU_DEP_4)
	v_sub_nc_u32_e32 v14, v14, v48
	v_cndmask_b32_e32 v13, v13, v18, vcc_lo
	v_cmp_le_u32_e32 vcc_lo, s9, v11
	v_subrev_nc_u32_e32 v18, s9, v12
	v_cmp_gt_i32_e64 s4, s18, v14
	s_delay_alu instid0(VALU_DEP_4) | instskip(SKIP_2) | instid1(VALU_DEP_4)
	v_xor_b32_e32 v13, v13, v45
	v_cndmask_b32_e32 v11, v11, v17, vcc_lo
	v_cmp_le_u32_e32 vcc_lo, s9, v12
	v_cndmask_b32_e64 v14, 0, 1, s4
	s_delay_alu instid0(VALU_DEP_4)
	v_sub_nc_u32_e32 v13, v13, v45
	v_cndmask_b32_e32 v12, v12, v18, vcc_lo
	v_subrev_nc_u32_e32 v17, s9, v11
	v_cmp_le_u32_e32 vcc_lo, s9, v11
	v_and_b32_e32 v18, 1, v41
	v_cmp_gt_i32_e64 s5, s18, v13
	v_xor_b32_e32 v12, v12, v47
	v_cndmask_b32_e32 v11, v11, v17, vcc_lo
	v_subrev_nc_u32_e32 v17, s9, v10
	v_cmp_le_u32_e32 vcc_lo, s9, v10
	v_cmp_eq_u32_e64 s8, 1, v18
	v_cndmask_b32_e64 v18, v36, v35, s6
	v_cndmask_b32_e64 v13, 0, 1, s5
	v_sub_nc_u32_e32 v12, v12, v47
	v_cndmask_b32_e32 v10, v10, v17, vcc_lo
	s_delay_alu instid0(VALU_DEP_2) | instskip(NEXT) | instid1(VALU_DEP_2)
	v_cmp_gt_i32_e32 vcc_lo, s18, v12
	v_subrev_nc_u32_e32 v17, s9, v10
	v_cmp_le_u32_e64 s7, s9, v10
	v_cndmask_b32_e64 v12, 0, 1, vcc_lo
	s_delay_alu instid0(VALU_DEP_2) | instskip(SKIP_2) | instid1(VALU_DEP_3)
	v_cndmask_b32_e64 v10, v10, v17, s7
	v_cmp_lt_f32_e64 s7, v44, v35
	v_cndmask_b32_e64 v17, v41, 1, s0
	v_xor_b32_e32 v10, v10, v43
	s_delay_alu instid0(VALU_DEP_3) | instskip(NEXT) | instid1(VALU_DEP_2)
	s_and_b32 s0, s0, s7
	v_cndmask_b32_e64 v7, v7, v17, s8
	v_cndmask_b32_e64 v36, v44, v35, s0
	;; [unrolled: 1-line block ×3, first 2 shown]
	v_sub_nc_u32_e32 v10, v10, v43
	s_delay_alu instid0(VALU_DEP_3) | instskip(SKIP_1) | instid1(VALU_DEP_3)
	v_cndmask_b32_e64 v18, v35, v36, s8
	s_waitcnt vmcnt(11)
	v_cmp_lt_f32_e64 s6, v32, v17
	v_and_b32_e32 v35, 1, v7
	v_cndmask_b32_e64 v7, v7, 1, s1
	v_cmp_lt_f32_e64 s7, v18, v32
	s_delay_alu instid0(VALU_DEP_4) | instskip(NEXT) | instid1(SALU_CYCLE_1)
	s_and_b32 s6, s1, s6
	v_cndmask_b32_e64 v17, v17, v32, s6
	v_cmp_eq_u32_e64 s6, 1, v35
	s_delay_alu instid0(VALU_DEP_3) | instskip(SKIP_1) | instid1(VALU_DEP_2)
	s_and_b32 s1, s1, s7
	v_cmp_le_u32_e64 s7, s9, v6
	v_cndmask_b32_e64 v7, v8, v7, s6
	v_cndmask_b32_e64 v8, v18, v32, s1
	v_cndmask_b32_e64 v17, v32, v17, s6
	v_subrev_nc_u32_e32 v18, s9, v6
	v_cmp_gt_i32_e64 s1, s18, v10
	s_delay_alu instid0(VALU_DEP_4)
	v_cndmask_b32_e64 v8, v32, v8, s6
	s_waitcnt vmcnt(1)
	v_cmp_lt_f32_e64 s6, v33, v17
	v_and_b32_e32 v32, 1, v7
	v_cndmask_b32_e64 v6, v6, v18, s7
	v_cndmask_b32_e64 v7, v7, 1, s2
	v_cmp_lt_f32_e64 s7, v8, v33
	s_and_b32 s6, s2, s6
	v_cmp_eq_u32_e64 s8, 1, v32
	v_cndmask_b32_e64 v17, v17, v33, s6
	v_subrev_nc_u32_e32 v18, s9, v6
	s_and_b32 s2, s2, s7
	v_xor_b32_e32 v11, v11, v46
	v_cndmask_b32_e64 v8, v8, v33, s2
	v_cndmask_b32_e64 v7, v16, v7, s8
	;; [unrolled: 1-line block ×3, first 2 shown]
	v_cmp_le_u32_e64 s2, s9, v6
	v_sub_nc_u32_e32 v11, v11, v46
	v_cndmask_b32_e64 v8, v33, v8, s8
	v_and_b32_e32 v17, 1, v7
	v_cndmask_b32_e64 v7, v7, 1, s3
	v_cndmask_b32_e64 v6, v6, v18, s2
	v_cmp_lt_f32_e64 s2, v29, v16
	v_cmp_lt_f32_e64 s6, v8, v29
	v_cmp_eq_u32_e64 s7, 1, v17
	v_cmp_gt_i32_e64 s0, s18, v11
	v_cndmask_b32_e64 v10, 0, 1, s1
	s_and_b32 s2, s3, s2
	v_xor_b32_e32 v6, v6, v39
	v_cndmask_b32_e64 v16, v16, v29, s2
	s_and_b32 s2, s3, s6
	v_cndmask_b32_e64 v7, v15, v7, s7
	v_cndmask_b32_e64 v8, v8, v29, s2
	v_cmp_le_u32_e64 s3, s9, v5
	v_cndmask_b32_e64 v15, v29, v16, s7
	v_subrev_nc_u32_e32 v16, s9, v5
	v_and_b32_e32 v17, 1, v7
	v_cndmask_b32_e64 v8, v29, v8, s7
	v_cndmask_b32_e64 v7, v7, 1, s4
	v_cmp_lt_f32_e64 s2, v28, v15
	v_cndmask_b32_e64 v5, v5, v16, s3
	v_cmp_eq_u32_e64 s3, 1, v17
	v_cmp_lt_f32_e64 s6, v8, v28
	v_cndmask_b32_e64 v11, 0, 1, s0
	s_and_b32 s2, s4, s2
	v_subrev_nc_u32_e32 v16, s9, v5
	v_cndmask_b32_e64 v15, v15, v28, s2
	s_and_b32 s4, s4, s6
	v_cndmask_b32_e64 v7, v14, v7, s3
	v_cndmask_b32_e64 v8, v8, v28, s4
	v_cmp_le_u32_e64 s4, s9, v5
	v_cndmask_b32_e64 v14, v28, v15, s3
	v_sub_nc_u32_e32 v6, v6, v39
	v_and_b32_e32 v15, 1, v7
	v_cndmask_b32_e64 v8, v28, v8, s3
	v_cndmask_b32_e64 v5, v5, v16, s4
	v_cmp_lt_f32_e64 s4, v27, v14
	v_cndmask_b32_e64 v7, v7, 1, s5
	v_cmp_gt_i32_e64 s2, s18, v6
	s_delay_alu instid0(VALU_DEP_4) | instskip(NEXT) | instid1(VALU_DEP_4)
	v_xor_b32_e32 v5, v5, v37
	s_and_b32 s3, s5, s4
	v_cmp_lt_f32_e64 s4, v8, v27
	v_cndmask_b32_e64 v14, v14, v27, s3
	v_cmp_eq_u32_e64 s3, 1, v15
	v_subrev_nc_u32_e32 v15, s9, v4
	v_cndmask_b32_e64 v6, 0, 1, s2
	s_and_b32 s4, s5, s4
	v_cmp_le_u32_e64 s5, s9, v4
	v_cndmask_b32_e64 v7, v13, v7, s3
	v_cndmask_b32_e64 v13, v27, v14, s3
	v_cndmask_b32_e64 v8, v8, v27, s4
	v_sub_nc_u32_e32 v5, v5, v37
	v_cndmask_b32_e64 v4, v4, v15, s5
	v_and_b32_e32 v14, 1, v7
	v_cmp_lt_f32_e64 s4, v25, v13
	v_cndmask_b32_e64 v8, v27, v8, s3
	v_cndmask_b32_e64 v7, v7, 1, vcc_lo
	s_delay_alu instid0(VALU_DEP_4) | instskip(NEXT) | instid1(VALU_DEP_4)
	v_cmp_eq_u32_e64 s3, 1, v14
	s_and_b32 s4, vcc_lo, s4
	s_delay_alu instid0(SALU_CYCLE_1) | instskip(SKIP_1) | instid1(VALU_DEP_3)
	v_cndmask_b32_e64 v13, v13, v25, s4
	v_cmp_lt_f32_e64 s4, v8, v25
	v_cndmask_b32_e64 v7, v12, v7, s3
	s_delay_alu instid0(VALU_DEP_3) | instskip(NEXT) | instid1(VALU_DEP_3)
	v_cndmask_b32_e64 v12, v25, v13, s3
	s_and_b32 vcc_lo, vcc_lo, s4
	s_delay_alu instid0(VALU_DEP_2)
	v_and_b32_e32 v14, 1, v7
	v_cndmask_b32_e32 v8, v8, v25, vcc_lo
	v_cndmask_b32_e64 v7, v7, 1, s0
	v_subrev_nc_u32_e32 v13, s9, v4
	v_cmp_gt_i32_e32 vcc_lo, s18, v5
	v_cmp_eq_u32_e64 s4, 1, v14
	v_cndmask_b32_e64 v8, v25, v8, s3
	v_cmp_lt_f32_e64 s3, v26, v12
	v_cndmask_b32_e64 v5, 0, 1, vcc_lo
	s_delay_alu instid0(VALU_DEP_4) | instskip(NEXT) | instid1(VALU_DEP_4)
	v_cndmask_b32_e64 v7, v11, v7, s4
	v_cmp_lt_f32_e64 s5, v8, v26
	s_delay_alu instid0(VALU_DEP_4) | instskip(NEXT) | instid1(SALU_CYCLE_1)
	s_and_b32 s3, s0, s3
	v_cndmask_b32_e64 v12, v12, v26, s3
	v_cmp_le_u32_e64 s3, s9, v4
	s_delay_alu instid0(VALU_DEP_3) | instskip(NEXT) | instid1(SALU_CYCLE_1)
	s_and_b32 s0, s0, s5
	v_cndmask_b32_e64 v8, v8, v26, s0
	s_delay_alu instid0(VALU_DEP_3)
	v_cndmask_b32_e64 v11, v26, v12, s4
	v_and_b32_e32 v12, 1, v7
	v_cndmask_b32_e64 v4, v4, v13, s3
	v_subrev_nc_u32_e32 v13, s9, v3
	v_cndmask_b32_e64 v8, v26, v8, s4
	v_cmp_lt_f32_e64 s0, v24, v11
	v_cndmask_b32_e64 v7, v7, 1, s1
	v_cmp_eq_u32_e64 s3, 1, v12
	v_xor_b32_e32 v4, v4, v31
	v_cmp_lt_f32_e64 s4, v8, v24
	s_and_b32 s0, s1, s0
	s_delay_alu instid0(SALU_CYCLE_1) | instskip(SKIP_3) | instid1(VALU_DEP_4)
	v_cndmask_b32_e64 v11, v11, v24, s0
	v_cmp_le_u32_e64 s0, s9, v3
	v_cndmask_b32_e64 v7, v10, v7, s3
	v_sub_nc_u32_e32 v4, v4, v31
	v_cndmask_b32_e64 v10, v24, v11, s3
	s_delay_alu instid0(VALU_DEP_4)
	v_cndmask_b32_e64 v3, v3, v13, s0
	s_and_b32 s0, s1, s4
	v_and_b32_e32 v12, 1, v7
	v_cndmask_b32_e64 v8, v8, v24, s0
	v_cmp_lt_f32_e64 s0, v23, v10
	v_subrev_nc_u32_e32 v11, s9, v3
	v_cndmask_b32_e64 v7, v7, 1, s2
	v_cmp_eq_u32_e64 s1, 1, v12
	v_cndmask_b32_e64 v8, v24, v8, s3
	s_and_b32 s0, s2, s0
	s_delay_alu instid0(SALU_CYCLE_1) | instskip(SKIP_1) | instid1(VALU_DEP_3)
	v_cndmask_b32_e64 v10, v10, v23, s0
	v_cmp_le_u32_e64 s0, s9, v3
	v_cmp_lt_f32_e64 s3, v8, v23
	v_cndmask_b32_e64 v6, v6, v7, s1
	s_delay_alu instid0(VALU_DEP_4) | instskip(NEXT) | instid1(VALU_DEP_4)
	v_cndmask_b32_e64 v7, v23, v10, s1
	v_cndmask_b32_e64 v3, v3, v11, s0
	s_delay_alu instid0(VALU_DEP_4) | instskip(NEXT) | instid1(VALU_DEP_3)
	s_and_b32 s0, s2, s3
	v_and_b32_e32 v10, 1, v6
	v_cndmask_b32_e64 v8, v8, v23, s0
	v_cmp_lt_f32_e64 s0, v22, v7
	v_subrev_nc_u32_e32 v11, s9, v2
	v_cndmask_b32_e64 v6, v6, 1, vcc_lo
	v_cmp_le_u32_e64 s2, s9, v2
	v_cndmask_b32_e64 v8, v23, v8, s1
	s_and_b32 s0, vcc_lo, s0
	v_cmp_eq_u32_e64 s1, 1, v10
	v_cndmask_b32_e64 v7, v7, v22, s0
	v_cndmask_b32_e64 v2, v2, v11, s2
	v_cmp_lt_f32_e64 s0, v8, v22
	v_xor_b32_e32 v3, v3, v9
	v_cndmask_b32_e64 v5, v5, v6, s1
	v_cndmask_b32_e64 v6, v22, v7, s1
	s_delay_alu instid0(VALU_DEP_4) | instskip(NEXT) | instid1(VALU_DEP_3)
	s_and_b32 vcc_lo, vcc_lo, s0
	v_sub_nc_u32_e32 v3, v3, v9
	v_cndmask_b32_e32 v7, v8, v22, vcc_lo
	v_subrev_nc_u32_e32 v8, s9, v2
	v_cmp_gt_i32_e32 vcc_lo, s18, v4
	v_cmp_lt_f32_e64 s0, v21, v6
	s_delay_alu instid0(VALU_DEP_4) | instskip(SKIP_2) | instid1(VALU_DEP_4)
	v_cndmask_b32_e64 v7, v22, v7, s1
	v_cmp_le_u32_e64 s1, s9, v2
	v_cndmask_b32_e64 v4, 0, 1, vcc_lo
	s_and_b32 s0, vcc_lo, s0
	s_delay_alu instid0(SALU_CYCLE_1) | instskip(NEXT) | instid1(VALU_DEP_3)
	v_cndmask_b32_e64 v6, v6, v21, s0
	v_cndmask_b32_e64 v2, v2, v8, s1
	v_and_b32_e32 v8, 1, v5
	v_cmp_lt_f32_e64 s1, v7, v21
	v_cndmask_b32_e64 v5, v5, 1, vcc_lo
	s_delay_alu instid0(VALU_DEP_4) | instskip(NEXT) | instid1(VALU_DEP_4)
	v_xor_b32_e32 v2, v2, v1
	v_cmp_eq_u32_e64 s0, 1, v8
	s_delay_alu instid0(VALU_DEP_4) | instskip(NEXT) | instid1(VALU_DEP_2)
	s_and_b32 vcc_lo, vcc_lo, s1
	v_sub_nc_u32_e32 v1, v2, v1
	s_delay_alu instid0(VALU_DEP_2) | instskip(SKIP_4) | instid1(VALU_DEP_4)
	v_cndmask_b32_e64 v4, v4, v5, s0
	v_cndmask_b32_e32 v5, v7, v21, vcc_lo
	v_cndmask_b32_e64 v6, v21, v6, s0
	v_cmp_gt_i32_e32 vcc_lo, s18, v3
	v_cmp_gt_i32_e64 s1, s18, v1
	v_cndmask_b32_e64 v2, v21, v5, s0
	v_and_b32_e32 v5, 1, v4
	v_cmp_lt_f32_e64 s0, v20, v6
	v_cndmask_b32_e64 v3, 0, 1, vcc_lo
	v_cndmask_b32_e64 v4, v4, 1, vcc_lo
	v_cmp_lt_f32_e64 s2, v2, v20
	v_cmp_eq_u32_e64 s3, 1, v5
	s_and_b32 s0, vcc_lo, s0
	v_cndmask_b32_e64 v1, 0, 1, s1
	s_delay_alu instid0(VALU_DEP_3) | instskip(NEXT) | instid1(VALU_DEP_2)
	s_and_b32 vcc_lo, vcc_lo, s2
	v_cndmask_b32_e64 v3, v3, v4, s3
	v_cndmask_b32_e64 v4, v6, v20, s0
	s_delay_alu instid0(VALU_DEP_2) | instskip(NEXT) | instid1(VALU_DEP_2)
	v_dual_cndmask_b32 v2, v2, v20 :: v_dual_and_b32 v5, 1, v3
	v_cndmask_b32_e64 v4, v20, v4, s3
	s_delay_alu instid0(VALU_DEP_2) | instskip(SKIP_1) | instid1(VALU_DEP_4)
	v_cndmask_b32_e64 v2, v20, v2, s3
	v_cndmask_b32_e64 v3, v3, 1, s1
	v_cmp_eq_u32_e32 vcc_lo, 1, v5
	s_waitcnt vmcnt(0)
	v_cmp_lt_f32_e64 s0, v19, v4
	v_cmp_lt_f32_e64 s2, v2, v19
	v_cndmask_b32_e32 v3, v1, v3, vcc_lo
	s_delay_alu instid0(VALU_DEP_3) | instskip(NEXT) | instid1(SALU_CYCLE_1)
	s_and_b32 s0, s1, s0
	v_cndmask_b32_e64 v4, v4, v19, s0
	s_delay_alu instid0(VALU_DEP_3) | instskip(NEXT) | instid1(VALU_DEP_2)
	s_and_b32 s0, s1, s2
	v_and_b32_e32 v1, 0xff, v3
	v_cndmask_b32_e64 v2, v2, v19, s0
	s_mov_b32 s0, exec_lo
	s_delay_alu instid0(VALU_DEP_2) | instskip(NEXT) | instid1(VALU_DEP_2)
	v_mov_b32_dpp v6, v1 quad_perm:[1,0,3,2] row_mask:0xf bank_mask:0xf
	v_cndmask_b32_e32 v2, v19, v2, vcc_lo
	v_cndmask_b32_e32 v1, v19, v4, vcc_lo
	s_delay_alu instid0(VALU_DEP_3) | instskip(NEXT) | instid1(VALU_DEP_3)
	v_and_b32_e32 v7, 1, v6
	v_mov_b32_dpp v4, v2 quad_perm:[1,0,3,2] row_mask:0xf bank_mask:0xf
	s_delay_alu instid0(VALU_DEP_3) | instskip(NEXT) | instid1(VALU_DEP_3)
	v_mov_b32_dpp v5, v1 quad_perm:[1,0,3,2] row_mask:0xf bank_mask:0xf
	v_cmpx_eq_u32_e32 1, v7
	s_xor_b32 s0, exec_lo, s0
	s_cbranch_execz .LBB35_11
; %bb.8:
	v_and_b32_e32 v3, 1, v3
	s_mov_b32 s1, exec_lo
	s_delay_alu instid0(VALU_DEP_1)
	v_cmpx_eq_u32_e32 1, v3
; %bb.9:
	v_cmp_gt_f32_e32 vcc_lo, v2, v4
	v_mov_b32_e32 v6, 1
	v_cndmask_b32_e32 v4, v4, v2, vcc_lo
	v_cmp_lt_f32_e32 vcc_lo, v1, v5
	v_cndmask_b32_e32 v5, v5, v1, vcc_lo
; %bb.10:
	s_or_b32 exec_lo, exec_lo, s1
	s_delay_alu instid0(VALU_DEP_3) | instskip(NEXT) | instid1(VALU_DEP_2)
	v_dual_mov_b32 v3, v6 :: v_dual_mov_b32 v2, v4
	v_mov_b32_e32 v1, v5
.LBB35_11:
	s_or_b32 exec_lo, exec_lo, s0
	s_delay_alu instid0(VALU_DEP_2) | instskip(NEXT) | instid1(VALU_DEP_2)
	v_and_b32_e32 v4, 0xff, v3
	v_mov_b32_dpp v5, v1 quad_perm:[2,3,0,1] row_mask:0xf bank_mask:0xf
	s_mov_b32 s0, exec_lo
	s_delay_alu instid0(VALU_DEP_2) | instskip(SKIP_1) | instid1(VALU_DEP_2)
	v_mov_b32_dpp v6, v4 quad_perm:[2,3,0,1] row_mask:0xf bank_mask:0xf
	v_mov_b32_dpp v4, v2 quad_perm:[2,3,0,1] row_mask:0xf bank_mask:0xf
	v_and_b32_e32 v7, 1, v6
	s_delay_alu instid0(VALU_DEP_1)
	v_cmpx_eq_u32_e32 1, v7
	s_cbranch_execz .LBB35_15
; %bb.12:
	v_and_b32_e32 v3, 1, v3
	s_mov_b32 s1, exec_lo
	s_delay_alu instid0(VALU_DEP_1)
	v_cmpx_eq_u32_e32 1, v3
; %bb.13:
	v_cmp_gt_f32_e32 vcc_lo, v2, v4
	v_mov_b32_e32 v6, 1
	v_cndmask_b32_e32 v4, v4, v2, vcc_lo
	v_cmp_lt_f32_e32 vcc_lo, v1, v5
	v_cndmask_b32_e32 v5, v5, v1, vcc_lo
; %bb.14:
	s_or_b32 exec_lo, exec_lo, s1
	s_delay_alu instid0(VALU_DEP_3) | instskip(NEXT) | instid1(VALU_DEP_2)
	v_dual_mov_b32 v3, v6 :: v_dual_mov_b32 v2, v4
	v_mov_b32_e32 v1, v5
.LBB35_15:
	s_or_b32 exec_lo, exec_lo, s0
	s_delay_alu instid0(VALU_DEP_2) | instskip(NEXT) | instid1(VALU_DEP_2)
	v_and_b32_e32 v4, 0xff, v3
	v_mov_b32_dpp v5, v1 row_ror:4 row_mask:0xf bank_mask:0xf
	s_mov_b32 s0, exec_lo
	s_delay_alu instid0(VALU_DEP_2) | instskip(SKIP_1) | instid1(VALU_DEP_2)
	v_mov_b32_dpp v6, v4 row_ror:4 row_mask:0xf bank_mask:0xf
	v_mov_b32_dpp v4, v2 row_ror:4 row_mask:0xf bank_mask:0xf
	v_and_b32_e32 v7, 1, v6
	s_delay_alu instid0(VALU_DEP_1)
	v_cmpx_eq_u32_e32 1, v7
	s_cbranch_execz .LBB35_19
; %bb.16:
	v_and_b32_e32 v3, 1, v3
	s_mov_b32 s1, exec_lo
	s_delay_alu instid0(VALU_DEP_1)
	v_cmpx_eq_u32_e32 1, v3
; %bb.17:
	v_cmp_gt_f32_e32 vcc_lo, v2, v4
	v_mov_b32_e32 v6, 1
	v_cndmask_b32_e32 v4, v4, v2, vcc_lo
	v_cmp_lt_f32_e32 vcc_lo, v1, v5
	v_cndmask_b32_e32 v5, v5, v1, vcc_lo
; %bb.18:
	s_or_b32 exec_lo, exec_lo, s1
	s_delay_alu instid0(VALU_DEP_3) | instskip(NEXT) | instid1(VALU_DEP_2)
	v_dual_mov_b32 v3, v6 :: v_dual_mov_b32 v2, v4
	v_mov_b32_e32 v1, v5
.LBB35_19:
	s_or_b32 exec_lo, exec_lo, s0
	s_delay_alu instid0(VALU_DEP_2) | instskip(NEXT) | instid1(VALU_DEP_2)
	v_and_b32_e32 v4, 0xff, v3
	v_mov_b32_dpp v5, v1 row_ror:8 row_mask:0xf bank_mask:0xf
	s_mov_b32 s0, exec_lo
	s_delay_alu instid0(VALU_DEP_2) | instskip(SKIP_1) | instid1(VALU_DEP_2)
	v_mov_b32_dpp v6, v4 row_ror:8 row_mask:0xf bank_mask:0xf
	v_mov_b32_dpp v4, v2 row_ror:8 row_mask:0xf bank_mask:0xf
	v_and_b32_e32 v7, 1, v6
	s_delay_alu instid0(VALU_DEP_1)
	v_cmpx_eq_u32_e32 1, v7
	s_cbranch_execz .LBB35_23
; %bb.20:
	v_and_b32_e32 v3, 1, v3
	s_mov_b32 s1, exec_lo
	s_delay_alu instid0(VALU_DEP_1)
	v_cmpx_eq_u32_e32 1, v3
; %bb.21:
	v_cmp_gt_f32_e32 vcc_lo, v2, v4
	v_mov_b32_e32 v6, 1
	v_cndmask_b32_e32 v4, v4, v2, vcc_lo
	v_cmp_lt_f32_e32 vcc_lo, v1, v5
	v_cndmask_b32_e32 v5, v5, v1, vcc_lo
; %bb.22:
	s_or_b32 exec_lo, exec_lo, s1
	s_delay_alu instid0(VALU_DEP_3) | instskip(NEXT) | instid1(VALU_DEP_2)
	v_dual_mov_b32 v3, v6 :: v_dual_mov_b32 v2, v4
	v_mov_b32_e32 v1, v5
.LBB35_23:
	s_or_b32 exec_lo, exec_lo, s0
	s_delay_alu instid0(VALU_DEP_2)
	v_and_b32_e32 v4, 0xff, v3
	ds_swizzle_b32 v5, v1 offset:swizzle(BROADCAST,32,15)
	s_mov_b32 s0, exec_lo
	ds_swizzle_b32 v6, v4 offset:swizzle(BROADCAST,32,15)
	ds_swizzle_b32 v4, v2 offset:swizzle(BROADCAST,32,15)
	s_waitcnt lgkmcnt(1)
	v_and_b32_e32 v7, 1, v6
	s_delay_alu instid0(VALU_DEP_1)
	v_cmpx_eq_u32_e32 1, v7
	s_cbranch_execz .LBB35_27
; %bb.24:
	v_and_b32_e32 v3, 1, v3
	s_mov_b32 s1, exec_lo
	s_delay_alu instid0(VALU_DEP_1)
	v_cmpx_eq_u32_e32 1, v3
	s_cbranch_execz .LBB35_26
; %bb.25:
	s_waitcnt lgkmcnt(0)
	v_cmp_gt_f32_e32 vcc_lo, v2, v4
	v_mov_b32_e32 v6, 1
	v_cndmask_b32_e32 v4, v4, v2, vcc_lo
	v_cmp_lt_f32_e32 vcc_lo, v1, v5
	v_cndmask_b32_e32 v5, v5, v1, vcc_lo
.LBB35_26:
	s_or_b32 exec_lo, exec_lo, s1
	s_waitcnt lgkmcnt(0)
	v_dual_mov_b32 v3, v6 :: v_dual_mov_b32 v2, v4
	s_delay_alu instid0(VALU_DEP_2)
	v_mov_b32_e32 v1, v5
.LBB35_27:
	s_or_b32 exec_lo, exec_lo, s0
	s_waitcnt lgkmcnt(0)
	s_delay_alu instid0(VALU_DEP_2)
	v_dual_mov_b32 v4, 0 :: v_dual_and_b32 v3, 0xff, v3
	s_mov_b32 s0, exec_lo
	ds_bpermute_b32 v5, v4, v3 offset:124
	ds_bpermute_b32 v1, v4, v1 offset:124
	;; [unrolled: 1-line block ×3, first 2 shown]
	v_mbcnt_lo_u32_b32 v3, -1, 0
	s_delay_alu instid0(VALU_DEP_1)
	v_cmpx_eq_u32_e32 0, v3
	s_cbranch_execz .LBB35_29
; %bb.28:
	v_lshrrev_b32_e32 v4, 5, v0
	s_delay_alu instid0(VALU_DEP_1)
	v_mul_u32_u24_e32 v4, 12, v4
	s_waitcnt lgkmcnt(2)
	ds_store_b8 v4, v5 offset:96
	s_waitcnt lgkmcnt(1)
	ds_store_2addr_b32 v4, v1, v2 offset0:25 offset1:26
.LBB35_29:
	s_or_b32 exec_lo, exec_lo, s0
	s_delay_alu instid0(SALU_CYCLE_1)
	s_mov_b32 s0, exec_lo
	s_waitcnt lgkmcnt(0)
	s_barrier
	buffer_gl0_inv
	v_cmpx_gt_u32_e32 32, v0
	s_cbranch_execz .LBB35_43
; %bb.30:
	v_and_b32_e32 v4, 7, v3
	s_mov_b32 s1, exec_lo
	s_delay_alu instid0(VALU_DEP_1) | instskip(SKIP_4) | instid1(VALU_DEP_1)
	v_mul_u32_u24_e32 v1, 12, v4
	v_cmp_ne_u32_e32 vcc_lo, 7, v4
	ds_load_u8 v7, v1 offset:96
	ds_load_2addr_b32 v[1:2], v1 offset0:25 offset1:26
	v_add_co_ci_u32_e32 v5, vcc_lo, 0, v3, vcc_lo
	v_lshlrev_b32_e32 v5, 2, v5
	s_waitcnt lgkmcnt(1)
	v_and_b32_e32 v8, 0xff, v7
	s_waitcnt lgkmcnt(0)
	ds_bpermute_b32 v6, v5, v1
	ds_bpermute_b32 v10, v5, v8
	;; [unrolled: 1-line block ×3, first 2 shown]
	v_and_b32_e32 v8, 1, v7
	s_delay_alu instid0(VALU_DEP_1)
	v_cmpx_eq_u32_e32 1, v8
	s_cbranch_execz .LBB35_34
; %bb.31:
	s_waitcnt lgkmcnt(1)
	v_and_b32_e32 v8, 1, v10
	s_mov_b32 s2, exec_lo
	s_delay_alu instid0(VALU_DEP_1)
	v_cmpx_eq_u32_e32 1, v8
	s_cbranch_execz .LBB35_33
; %bb.32:
	v_cmp_gt_f32_e32 vcc_lo, v1, v6
	v_mov_b32_e32 v7, 1
	v_cndmask_b32_e32 v1, v1, v6, vcc_lo
	s_waitcnt lgkmcnt(0)
	v_cmp_lt_f32_e32 vcc_lo, v2, v5
	v_cndmask_b32_e32 v2, v2, v5, vcc_lo
.LBB35_33:
	s_or_b32 exec_lo, exec_lo, s2
	s_waitcnt lgkmcnt(0)
	s_delay_alu instid0(VALU_DEP_1)
	v_dual_mov_b32 v10, v7 :: v_dual_mov_b32 v5, v2
	v_mov_b32_e32 v6, v1
.LBB35_34:
	s_or_b32 exec_lo, exec_lo, s1
	v_cmp_gt_u32_e32 vcc_lo, 6, v4
	s_waitcnt lgkmcnt(1)
	v_and_b32_e32 v2, 0xff, v10
	s_mov_b32 s1, exec_lo
	v_cndmask_b32_e64 v1, 0, 1, vcc_lo
	s_delay_alu instid0(VALU_DEP_1) | instskip(NEXT) | instid1(VALU_DEP_1)
	v_lshlrev_b32_e32 v1, 1, v1
	v_add_lshl_u32 v1, v1, v3, 2
	ds_bpermute_b32 v9, v1, v2
	ds_bpermute_b32 v8, v1, v6
	s_waitcnt lgkmcnt(2)
	ds_bpermute_b32 v7, v1, v5
	v_and_b32_e32 v1, 1, v10
	s_delay_alu instid0(VALU_DEP_1)
	v_cmpx_eq_u32_e32 1, v1
	s_cbranch_execz .LBB35_38
; %bb.35:
	s_waitcnt lgkmcnt(2)
	v_and_b32_e32 v1, 1, v9
	s_mov_b32 s2, exec_lo
	s_delay_alu instid0(VALU_DEP_1)
	v_cmpx_eq_u32_e32 1, v1
	s_cbranch_execz .LBB35_37
; %bb.36:
	s_waitcnt lgkmcnt(1)
	v_cmp_gt_f32_e32 vcc_lo, v6, v8
	v_mov_b32_e32 v10, 1
	v_cndmask_b32_e32 v6, v6, v8, vcc_lo
	s_waitcnt lgkmcnt(0)
	v_cmp_lt_f32_e32 vcc_lo, v5, v7
	v_cndmask_b32_e32 v5, v5, v7, vcc_lo
.LBB35_37:
	s_or_b32 exec_lo, exec_lo, s2
	v_mov_b32_e32 v9, v10
	s_waitcnt lgkmcnt(0)
	s_delay_alu instid0(VALU_DEP_2)
	v_dual_mov_b32 v8, v6 :: v_dual_mov_b32 v7, v5
.LBB35_38:
	s_or_b32 exec_lo, exec_lo, s1
	v_cmp_gt_u32_e32 vcc_lo, 4, v4
	s_waitcnt lgkmcnt(2)
	v_and_b32_e32 v2, 0xff, v9
	s_mov_b32 s1, exec_lo
	v_cndmask_b32_e64 v1, 0, 1, vcc_lo
	s_delay_alu instid0(VALU_DEP_1) | instskip(NEXT) | instid1(VALU_DEP_1)
	v_lshlrev_b32_e32 v1, 2, v1
	v_add_lshl_u32 v4, v1, v3, 2
	ds_bpermute_b32 v3, v4, v2
	s_waitcnt lgkmcnt(2)
	ds_bpermute_b32 v1, v4, v8
	s_waitcnt lgkmcnt(2)
	ds_bpermute_b32 v2, v4, v7
	v_and_b32_e32 v4, 1, v9
	s_delay_alu instid0(VALU_DEP_1)
	v_cmpx_eq_u32_e32 1, v4
	s_cbranch_execz .LBB35_42
; %bb.39:
	s_waitcnt lgkmcnt(2)
	v_and_b32_e32 v3, 1, v3
	s_mov_b32 s2, exec_lo
	s_delay_alu instid0(VALU_DEP_1)
	v_cmpx_eq_u32_e32 1, v3
	s_cbranch_execz .LBB35_41
; %bb.40:
	s_waitcnt lgkmcnt(1)
	v_cmp_gt_f32_e32 vcc_lo, v8, v1
	v_dual_mov_b32 v9, 1 :: v_dual_cndmask_b32 v8, v8, v1
	s_waitcnt lgkmcnt(0)
	v_cmp_lt_f32_e32 vcc_lo, v7, v2
	v_cndmask_b32_e32 v7, v7, v2, vcc_lo
.LBB35_41:
	s_or_b32 exec_lo, exec_lo, s2
	s_waitcnt lgkmcnt(0)
	s_delay_alu instid0(VALU_DEP_1)
	v_dual_mov_b32 v3, v9 :: v_dual_mov_b32 v2, v7
	v_mov_b32_e32 v1, v8
.LBB35_42:
	s_or_b32 exec_lo, exec_lo, s1
	s_waitcnt lgkmcnt(2)
	s_delay_alu instid0(VALU_DEP_2)
	v_and_b32_e32 v5, 0xff, v3
.LBB35_43:
	s_or_b32 exec_lo, exec_lo, s0
	s_mov_b32 s0, 0
	s_branch .LBB35_91
.LBB35_44:
	s_mov_b32 s10, 0
                                        ; implicit-def: $vgpr4
                                        ; implicit-def: $vgpr6
	s_cbranch_execnz .LBB35_525
	s_branch .LBB35_680
.LBB35_45:
	s_mov_b32 s10, 0
                                        ; implicit-def: $vgpr4
                                        ; implicit-def: $vgpr6
	s_cbranch_execnz .LBB35_395
	s_branch .LBB35_437
.LBB35_46:
	s_mov_b32 s31, -1
.LBB35_47:
	s_mov_b32 s10, 0
                                        ; implicit-def: $vgpr4
                                        ; implicit-def: $vgpr6
	s_and_b32 vcc_lo, exec_lo, s31
	s_cbranch_vccz .LBB35_298
.LBB35_48:
	s_cmp_eq_u32 s28, 8
	s_cbranch_scc0 .LBB35_89
; %bb.49:
	s_mov_b32 s25, 0
	s_lshl_b32 s8, s24, 11
	s_mov_b32 s9, s25
	s_lshr_b64 s[0:1], s[20:21], 11
	s_lshl_b64 s[2:3], s[8:9], 2
	s_add_i32 s9, s29, s8
	s_add_u32 s6, s16, s2
	s_addc_u32 s7, s17, s3
	s_cmp_lg_u64 s[0:1], s[24:25]
	s_cbranch_scc0 .LBB35_138
; %bb.50:
	v_lshlrev_b32_e32 v5, 2, v0
	s_abs_i32 s5, s19
	s_waitcnt lgkmcnt(1)
	s_delay_alu instid0(VALU_DEP_1) | instskip(SKIP_3) | instid1(VALU_DEP_2)
	v_add_co_u32 v1, s0, s6, v5
	s_waitcnt lgkmcnt(0)
	v_add_co_ci_u32_e64 v2, null, s7, 0, s0
	s_sub_i32 s0, 0, s5
	v_add_co_u32 v3, vcc_lo, 0x1000, v1
	s_delay_alu instid0(VALU_DEP_2)
	v_add_co_ci_u32_e32 v4, vcc_lo, 0, v2, vcc_lo
	s_clause 0x6
	global_load_b32 v16, v5, s[6:7] offset:1024
	global_load_b32 v15, v5, s[6:7] offset:2048
	global_load_b32 v14, v5, s[6:7] offset:3072
	global_load_b32 v13, v[3:4], off
	global_load_b32 v12, v[3:4], off offset:1024
	global_load_b32 v11, v[3:4], off offset:2048
	;; [unrolled: 1-line block ×3, first 2 shown]
	v_cvt_f32_u32_e32 v3, s5
	v_add_nc_u32_e32 v5, s9, v0
	s_delay_alu instid0(VALU_DEP_2) | instskip(NEXT) | instid1(VALU_DEP_1)
	v_rcp_iflag_f32_e32 v3, v3
	v_add_nc_u32_e32 v6, 0x100, v5
	v_sub_nc_u32_e32 v7, 0, v5
	s_delay_alu instid0(VALU_DEP_2) | instskip(NEXT) | instid1(VALU_DEP_2)
	v_sub_nc_u32_e32 v8, 0, v6
	v_max_i32_e32 v7, v5, v7
	s_waitcnt_depctr 0xfff
	v_mul_f32_e32 v3, 0x4f7ffffe, v3
	s_delay_alu instid0(VALU_DEP_1) | instskip(NEXT) | instid1(VALU_DEP_1)
	v_cvt_u32_f32_e32 v3, v3
	v_mul_lo_u32 v4, s0, v3
	s_delay_alu instid0(VALU_DEP_1) | instskip(NEXT) | instid1(VALU_DEP_1)
	v_mul_hi_u32 v4, v3, v4
	v_add_nc_u32_e32 v17, v3, v4
	v_max_i32_e32 v3, v6, v8
	s_delay_alu instid0(VALU_DEP_2) | instskip(NEXT) | instid1(VALU_DEP_2)
	v_mul_hi_u32 v4, v7, v17
	v_mul_hi_u32 v8, v3, v17
	s_delay_alu instid0(VALU_DEP_2) | instskip(NEXT) | instid1(VALU_DEP_2)
	v_mul_lo_u32 v4, v4, s5
	v_mul_lo_u32 v8, v8, s5
	s_delay_alu instid0(VALU_DEP_2) | instskip(NEXT) | instid1(VALU_DEP_2)
	v_sub_nc_u32_e32 v4, v7, v4
	v_sub_nc_u32_e32 v3, v3, v8
	s_delay_alu instid0(VALU_DEP_2) | instskip(SKIP_1) | instid1(VALU_DEP_3)
	v_subrev_nc_u32_e32 v7, s5, v4
	v_cmp_le_u32_e32 vcc_lo, s5, v4
	v_subrev_nc_u32_e32 v8, s5, v3
	s_delay_alu instid0(VALU_DEP_3) | instskip(SKIP_1) | instid1(VALU_DEP_2)
	v_cndmask_b32_e32 v4, v4, v7, vcc_lo
	v_cmp_le_u32_e32 vcc_lo, s5, v3
	v_subrev_nc_u32_e32 v7, s5, v4
	s_delay_alu instid0(VALU_DEP_4) | instskip(SKIP_2) | instid1(VALU_DEP_3)
	v_cndmask_b32_e32 v3, v3, v8, vcc_lo
	v_cmp_le_u32_e32 vcc_lo, s5, v4
	v_ashrrev_i32_e32 v6, 31, v6
	v_subrev_nc_u32_e32 v9, s5, v3
	v_cndmask_b32_e32 v4, v4, v7, vcc_lo
	v_cmp_le_u32_e32 vcc_lo, s5, v3
	v_ashrrev_i32_e32 v8, 31, v5
	v_add_nc_u32_e32 v18, 0x300, v5
	v_add_nc_u32_e32 v7, 0x200, v5
	;; [unrolled: 1-line block ×3, first 2 shown]
	v_cndmask_b32_e32 v3, v3, v9, vcc_lo
	v_xor_b32_e32 v4, v4, v8
	v_ashrrev_i32_e32 v23, 31, v18
	v_add_nc_u32_e32 v30, 0x700, v5
	v_ashrrev_i32_e32 v22, 31, v7
	v_xor_b32_e32 v3, v3, v6
	v_sub_nc_u32_e32 v4, v4, v8
	s_delay_alu instid0(VALU_DEP_2) | instskip(NEXT) | instid1(VALU_DEP_2)
	v_sub_nc_u32_e32 v3, v3, v6
	v_cmp_gt_i32_e64 s0, s18, v4
	v_sub_nc_u32_e32 v4, 0, v18
	v_sub_nc_u32_e32 v6, 0, v7
	s_delay_alu instid0(VALU_DEP_4) | instskip(SKIP_1) | instid1(VALU_DEP_4)
	v_cmp_gt_i32_e32 vcc_lo, s18, v3
	v_add_nc_u32_e32 v3, 0x400, v5
	v_max_i32_e32 v27, v18, v4
	v_add_nc_u32_e32 v18, 0x500, v5
	v_max_i32_e32 v26, v7, v6
	v_sub_nc_u32_e32 v5, 0, v30
	v_sub_nc_u32_e32 v4, 0, v3
	v_ashrrev_i32_e32 v24, 31, v3
	v_ashrrev_i32_e32 v19, 31, v18
	v_mad_u64_u32 v[8:9], null, v26, v17, 0
	s_delay_alu instid0(VALU_DEP_4) | instskip(SKIP_3) | instid1(VALU_DEP_4)
	v_max_i32_e32 v28, v3, v4
	v_sub_nc_u32_e32 v3, 0, v18
	v_sub_nc_u32_e32 v4, 0, v21
	v_mad_u64_u32 v[7:8], null, v27, v17, 0
	v_mad_u64_u32 v[6:7], null, v28, v17, 0
	s_delay_alu instid0(VALU_DEP_4) | instskip(NEXT) | instid1(VALU_DEP_4)
	v_max_i32_e32 v29, v18, v3
	v_max_i32_e32 v25, v21, v4
	;; [unrolled: 1-line block ×3, first 2 shown]
	v_cndmask_b32_e64 v20, 0, 1, vcc_lo
	s_delay_alu instid0(VALU_DEP_4) | instskip(NEXT) | instid1(VALU_DEP_4)
	v_mad_u64_u32 v[5:6], null, v29, v17, 0
	v_mad_u64_u32 v[4:5], null, v25, v17, 0
	s_delay_alu instid0(VALU_DEP_4)
	v_mad_u64_u32 v[3:4], null, v18, v17, 0
	v_ashrrev_i32_e32 v17, 31, v21
	v_ashrrev_i32_e32 v3, 31, v30
	s_waitcnt vmcnt(6)
	v_mov_b32_e32 v21, v16
	s_and_saveexec_b32 s2, s0
	s_cbranch_execz .LBB35_52
; %bb.51:
	global_load_b32 v1, v[1:2], off
	v_mov_b32_e32 v20, 1
	s_waitcnt vmcnt(0)
	v_cmp_lt_f32_e64 s0, v16, v1
	v_cmp_lt_f32_e64 s1, v1, v16
	s_delay_alu instid0(VALU_DEP_2) | instskip(NEXT) | instid1(VALU_DEP_1)
	s_and_b32 s0, vcc_lo, s0
	s_and_b32 vcc_lo, vcc_lo, s1
	v_cndmask_b32_e64 v2, v1, v16, s0
	s_delay_alu instid0(VALU_DEP_1)
	v_dual_cndmask_b32 v21, v1, v16 :: v_dual_mov_b32 v16, v2
.LBB35_52:
	s_or_b32 exec_lo, exec_lo, s2
	v_mul_lo_u32 v1, v9, s5
	v_mul_lo_u32 v2, v8, s5
	;; [unrolled: 1-line block ×5, first 2 shown]
	s_waitcnt vmcnt(5)
	v_cmp_lt_f32_e64 s2, v15, v16
	v_cmp_lt_f32_e64 s4, v21, v15
	v_mul_lo_u32 v4, v4, s5
	v_sub_nc_u32_e32 v1, v26, v1
	v_sub_nc_u32_e32 v2, v27, v2
	;; [unrolled: 1-line block ×5, first 2 shown]
	v_subrev_nc_u32_e32 v8, s5, v1
	v_cmp_le_u32_e32 vcc_lo, s5, v1
	v_subrev_nc_u32_e32 v9, s5, v2
	v_subrev_nc_u32_e32 v26, s5, v7
	v_sub_nc_u32_e32 v4, v18, v4
	v_cndmask_b32_e32 v1, v1, v8, vcc_lo
	v_cmp_le_u32_e32 vcc_lo, s5, v2
	v_cndmask_b32_e32 v2, v2, v9, vcc_lo
	v_cmp_le_u32_e32 vcc_lo, s5, v7
	s_delay_alu instid0(VALU_DEP_4)
	v_subrev_nc_u32_e32 v8, s5, v1
	v_subrev_nc_u32_e32 v9, s5, v6
	v_cndmask_b32_e32 v7, v7, v26, vcc_lo
	v_cmp_le_u32_e32 vcc_lo, s5, v1
	v_subrev_nc_u32_e32 v26, s5, v2
	v_cndmask_b32_e32 v1, v1, v8, vcc_lo
	v_cmp_le_u32_e32 vcc_lo, s5, v2
	s_delay_alu instid0(VALU_DEP_3) | instskip(SKIP_1) | instid1(VALU_DEP_4)
	v_cndmask_b32_e32 v2, v2, v26, vcc_lo
	v_cmp_le_u32_e32 vcc_lo, s5, v6
	v_xor_b32_e32 v1, v1, v22
	s_delay_alu instid0(VALU_DEP_3)
	v_xor_b32_e32 v2, v2, v23
	v_cndmask_b32_e32 v6, v6, v9, vcc_lo
	v_subrev_nc_u32_e32 v27, s5, v7
	v_cmp_le_u32_e32 vcc_lo, s5, v7
	v_sub_nc_u32_e32 v1, v1, v22
	v_sub_nc_u32_e32 v2, v2, v23
	v_subrev_nc_u32_e32 v8, s5, v6
	v_subrev_nc_u32_e32 v9, s5, v5
	v_cndmask_b32_e32 v7, v7, v27, vcc_lo
	v_cmp_le_u32_e32 vcc_lo, s5, v6
	v_cmp_gt_i32_e64 s0, s18, v2
	v_cndmask_b32_e32 v6, v6, v8, vcc_lo
	v_cmp_gt_i32_e32 vcc_lo, s18, v1
	v_and_b32_e32 v8, 1, v20
	v_xor_b32_e32 v7, v7, v24
	v_cndmask_b32_e64 v2, 0, 1, s0
	v_xor_b32_e32 v6, v6, v19
	s_and_b32 s2, vcc_lo, s2
	v_cmp_eq_u32_e64 s3, 1, v8
	v_cndmask_b32_e64 v8, v16, v15, s2
	v_cndmask_b32_e64 v1, 0, 1, vcc_lo
	v_cndmask_b32_e64 v20, v20, 1, vcc_lo
	v_cmp_le_u32_e64 s2, s5, v5
	s_and_b32 vcc_lo, vcc_lo, s4
	v_cndmask_b32_e64 v8, v15, v8, s3
	v_sub_nc_u32_e32 v6, v6, v19
	v_cndmask_b32_e64 v1, v1, v20, s3
	v_cndmask_b32_e64 v5, v5, v9, s2
	v_cndmask_b32_e32 v9, v21, v15, vcc_lo
	s_waitcnt vmcnt(4)
	v_cmp_lt_f32_e32 vcc_lo, v14, v8
	v_sub_nc_u32_e32 v7, v7, v24
	v_subrev_nc_u32_e32 v16, s5, v5
	v_cndmask_b32_e64 v9, v15, v9, s3
	s_and_b32 vcc_lo, s0, vcc_lo
	v_dual_cndmask_b32 v8, v8, v14 :: v_dual_and_b32 v19, 1, v1
	v_cndmask_b32_e64 v1, v1, 1, s0
	s_delay_alu instid0(VALU_DEP_3) | instskip(SKIP_1) | instid1(VALU_DEP_4)
	v_cmp_lt_f32_e64 s3, v9, v14
	v_cmp_le_u32_e32 vcc_lo, s5, v5
	v_cmp_eq_u32_e64 s2, 1, v19
	v_cmp_gt_i32_e64 s1, s18, v7
	v_subrev_nc_u32_e32 v15, s5, v4
	s_delay_alu instid0(VALU_DEP_3)
	v_cndmask_b32_e64 v1, v2, v1, s2
	v_cndmask_b32_e64 v2, v14, v8, s2
	v_cndmask_b32_e32 v5, v5, v16, vcc_lo
	s_and_b32 vcc_lo, s0, s3
	v_cndmask_b32_e64 v7, 0, 1, s1
	v_dual_cndmask_b32 v8, v9, v14 :: v_dual_and_b32 v9, 1, v1
	s_waitcnt vmcnt(3)
	v_cmp_lt_f32_e32 vcc_lo, v13, v2
	v_cndmask_b32_e64 v1, v1, 1, s1
	s_delay_alu instid0(VALU_DEP_3)
	v_cndmask_b32_e64 v8, v14, v8, s2
	v_cmp_le_u32_e64 s2, s5, v4
	s_and_b32 vcc_lo, s1, vcc_lo
	v_cmp_eq_u32_e64 s0, 1, v9
	v_cndmask_b32_e32 v2, v2, v13, vcc_lo
	v_cmp_lt_f32_e32 vcc_lo, v8, v13
	v_cndmask_b32_e64 v4, v4, v15, s2
	v_xor_b32_e32 v5, v5, v17
	v_cndmask_b32_e64 v1, v7, v1, s0
	v_cndmask_b32_e64 v2, v13, v2, s0
	s_and_b32 vcc_lo, s1, vcc_lo
	v_cmp_le_u32_e64 s1, s5, v4
	v_cndmask_b32_e32 v7, v8, v13, vcc_lo
	v_subrev_nc_u32_e32 v8, s5, v4
	v_cmp_gt_i32_e32 vcc_lo, s18, v6
	v_sub_nc_u32_e32 v5, v5, v17
	s_delay_alu instid0(VALU_DEP_4)
	v_cndmask_b32_e64 v7, v13, v7, s0
	s_waitcnt vmcnt(2)
	v_cmp_lt_f32_e64 s0, v12, v2
	v_cndmask_b32_e64 v4, v4, v8, s1
	v_and_b32_e32 v8, 1, v1
	v_cndmask_b32_e64 v6, 0, 1, vcc_lo
	v_cmp_lt_f32_e64 s1, v7, v12
	s_and_b32 s0, vcc_lo, s0
	v_cndmask_b32_e64 v1, v1, 1, vcc_lo
	v_cndmask_b32_e64 v2, v2, v12, s0
	v_cmp_eq_u32_e64 s0, 1, v8
	s_and_b32 vcc_lo, vcc_lo, s1
	v_xor_b32_e32 v4, v4, v3
	s_delay_alu instid0(VALU_DEP_2) | instskip(SKIP_2) | instid1(VALU_DEP_4)
	v_cndmask_b32_e64 v1, v6, v1, s0
	v_cndmask_b32_e32 v6, v7, v12, vcc_lo
	v_cmp_gt_i32_e32 vcc_lo, s18, v5
	v_sub_nc_u32_e32 v3, v4, v3
	v_cndmask_b32_e64 v2, v12, v2, s0
	s_delay_alu instid0(VALU_DEP_4)
	v_cndmask_b32_e64 v4, v12, v6, s0
	v_and_b32_e32 v6, 1, v1
	v_cndmask_b32_e64 v5, 0, 1, vcc_lo
	v_cndmask_b32_e64 v1, v1, 1, vcc_lo
	s_waitcnt vmcnt(1)
	v_cmp_lt_f32_e64 s0, v11, v2
	v_cmp_lt_f32_e64 s2, v4, v11
	v_cmp_eq_u32_e64 s3, 1, v6
	v_cmp_gt_i32_e64 s1, s18, v3
	s_delay_alu instid0(VALU_DEP_4) | instskip(NEXT) | instid1(VALU_DEP_3)
	s_and_b32 s0, vcc_lo, s0
	s_and_b32 vcc_lo, vcc_lo, s2
	s_delay_alu instid0(VALU_DEP_2) | instskip(SKIP_2) | instid1(VALU_DEP_3)
	v_cndmask_b32_e64 v1, v5, v1, s3
	v_cndmask_b32_e64 v2, v2, v11, s0
	;; [unrolled: 1-line block ×3, first 2 shown]
	v_and_b32_e32 v5, 1, v1
	v_cndmask_b32_e64 v1, v1, 1, s1
	v_cndmask_b32_e32 v4, v4, v11, vcc_lo
	v_cndmask_b32_e64 v2, v11, v2, s3
	s_delay_alu instid0(VALU_DEP_4) | instskip(SKIP_1) | instid1(VALU_DEP_2)
	v_cmp_eq_u32_e32 vcc_lo, 1, v5
	s_waitcnt vmcnt(0)
	v_cmp_lt_f32_e64 s0, v10, v2
	v_cndmask_b32_e32 v3, v3, v1, vcc_lo
	v_cndmask_b32_e64 v4, v11, v4, s3
	s_delay_alu instid0(VALU_DEP_3) | instskip(NEXT) | instid1(SALU_CYCLE_1)
	s_and_b32 s0, s1, s0
	v_cndmask_b32_e64 v2, v2, v10, s0
	s_delay_alu instid0(VALU_DEP_2) | instskip(SKIP_1) | instid1(VALU_DEP_2)
	v_cmp_lt_f32_e64 s2, v4, v10
	v_and_b32_e32 v1, 0xff, v3
	s_and_b32 s0, s1, s2
	s_delay_alu instid0(VALU_DEP_1) | instskip(SKIP_3) | instid1(VALU_DEP_2)
	v_mov_b32_dpp v6, v1 quad_perm:[1,0,3,2] row_mask:0xf bank_mask:0xf
	v_cndmask_b32_e64 v4, v4, v10, s0
	v_cndmask_b32_e32 v1, v10, v2, vcc_lo
	s_mov_b32 s0, exec_lo
	v_dual_cndmask_b32 v2, v10, v4 :: v_dual_and_b32 v7, 1, v6
	s_delay_alu instid0(VALU_DEP_2) | instskip(NEXT) | instid1(VALU_DEP_2)
	v_mov_b32_dpp v5, v1 quad_perm:[1,0,3,2] row_mask:0xf bank_mask:0xf
	v_mov_b32_dpp v4, v2 quad_perm:[1,0,3,2] row_mask:0xf bank_mask:0xf
	s_delay_alu instid0(VALU_DEP_3)
	v_cmpx_eq_u32_e32 1, v7
	s_xor_b32 s0, exec_lo, s0
	s_cbranch_execz .LBB35_56
; %bb.53:
	v_and_b32_e32 v3, 1, v3
	s_mov_b32 s1, exec_lo
	s_delay_alu instid0(VALU_DEP_1)
	v_cmpx_eq_u32_e32 1, v3
; %bb.54:
	v_cmp_gt_f32_e32 vcc_lo, v2, v4
	v_mov_b32_e32 v6, 1
	v_cndmask_b32_e32 v4, v4, v2, vcc_lo
	v_cmp_lt_f32_e32 vcc_lo, v1, v5
	v_cndmask_b32_e32 v5, v5, v1, vcc_lo
; %bb.55:
	s_or_b32 exec_lo, exec_lo, s1
	s_delay_alu instid0(VALU_DEP_3) | instskip(NEXT) | instid1(VALU_DEP_2)
	v_dual_mov_b32 v3, v6 :: v_dual_mov_b32 v2, v4
	v_mov_b32_e32 v1, v5
.LBB35_56:
	s_or_b32 exec_lo, exec_lo, s0
	s_delay_alu instid0(VALU_DEP_2) | instskip(NEXT) | instid1(VALU_DEP_2)
	v_and_b32_e32 v4, 0xff, v3
	v_mov_b32_dpp v5, v1 quad_perm:[2,3,0,1] row_mask:0xf bank_mask:0xf
	s_mov_b32 s0, exec_lo
	s_delay_alu instid0(VALU_DEP_2) | instskip(SKIP_1) | instid1(VALU_DEP_2)
	v_mov_b32_dpp v6, v4 quad_perm:[2,3,0,1] row_mask:0xf bank_mask:0xf
	v_mov_b32_dpp v4, v2 quad_perm:[2,3,0,1] row_mask:0xf bank_mask:0xf
	v_and_b32_e32 v7, 1, v6
	s_delay_alu instid0(VALU_DEP_1)
	v_cmpx_eq_u32_e32 1, v7
	s_cbranch_execz .LBB35_60
; %bb.57:
	v_and_b32_e32 v3, 1, v3
	s_mov_b32 s1, exec_lo
	s_delay_alu instid0(VALU_DEP_1)
	v_cmpx_eq_u32_e32 1, v3
; %bb.58:
	v_cmp_gt_f32_e32 vcc_lo, v2, v4
	v_mov_b32_e32 v6, 1
	v_cndmask_b32_e32 v4, v4, v2, vcc_lo
	v_cmp_lt_f32_e32 vcc_lo, v1, v5
	v_cndmask_b32_e32 v5, v5, v1, vcc_lo
; %bb.59:
	s_or_b32 exec_lo, exec_lo, s1
	s_delay_alu instid0(VALU_DEP_3) | instskip(NEXT) | instid1(VALU_DEP_2)
	v_dual_mov_b32 v3, v6 :: v_dual_mov_b32 v2, v4
	v_mov_b32_e32 v1, v5
.LBB35_60:
	s_or_b32 exec_lo, exec_lo, s0
	s_delay_alu instid0(VALU_DEP_2) | instskip(NEXT) | instid1(VALU_DEP_2)
	v_and_b32_e32 v4, 0xff, v3
	v_mov_b32_dpp v5, v1 row_ror:4 row_mask:0xf bank_mask:0xf
	s_mov_b32 s0, exec_lo
	s_delay_alu instid0(VALU_DEP_2) | instskip(SKIP_1) | instid1(VALU_DEP_2)
	v_mov_b32_dpp v6, v4 row_ror:4 row_mask:0xf bank_mask:0xf
	v_mov_b32_dpp v4, v2 row_ror:4 row_mask:0xf bank_mask:0xf
	v_and_b32_e32 v7, 1, v6
	s_delay_alu instid0(VALU_DEP_1)
	v_cmpx_eq_u32_e32 1, v7
	s_cbranch_execz .LBB35_64
; %bb.61:
	v_and_b32_e32 v3, 1, v3
	s_mov_b32 s1, exec_lo
	s_delay_alu instid0(VALU_DEP_1)
	v_cmpx_eq_u32_e32 1, v3
; %bb.62:
	v_cmp_gt_f32_e32 vcc_lo, v2, v4
	v_mov_b32_e32 v6, 1
	v_cndmask_b32_e32 v4, v4, v2, vcc_lo
	v_cmp_lt_f32_e32 vcc_lo, v1, v5
	v_cndmask_b32_e32 v5, v5, v1, vcc_lo
; %bb.63:
	s_or_b32 exec_lo, exec_lo, s1
	s_delay_alu instid0(VALU_DEP_3) | instskip(NEXT) | instid1(VALU_DEP_2)
	v_dual_mov_b32 v3, v6 :: v_dual_mov_b32 v2, v4
	v_mov_b32_e32 v1, v5
.LBB35_64:
	s_or_b32 exec_lo, exec_lo, s0
	s_delay_alu instid0(VALU_DEP_2) | instskip(NEXT) | instid1(VALU_DEP_2)
	v_and_b32_e32 v4, 0xff, v3
	v_mov_b32_dpp v5, v1 row_ror:8 row_mask:0xf bank_mask:0xf
	s_mov_b32 s0, exec_lo
	s_delay_alu instid0(VALU_DEP_2) | instskip(SKIP_1) | instid1(VALU_DEP_2)
	v_mov_b32_dpp v6, v4 row_ror:8 row_mask:0xf bank_mask:0xf
	v_mov_b32_dpp v4, v2 row_ror:8 row_mask:0xf bank_mask:0xf
	v_and_b32_e32 v7, 1, v6
	s_delay_alu instid0(VALU_DEP_1)
	v_cmpx_eq_u32_e32 1, v7
	s_cbranch_execz .LBB35_68
; %bb.65:
	v_and_b32_e32 v3, 1, v3
	s_mov_b32 s1, exec_lo
	s_delay_alu instid0(VALU_DEP_1)
	v_cmpx_eq_u32_e32 1, v3
; %bb.66:
	v_cmp_gt_f32_e32 vcc_lo, v2, v4
	v_mov_b32_e32 v6, 1
	v_cndmask_b32_e32 v4, v4, v2, vcc_lo
	v_cmp_lt_f32_e32 vcc_lo, v1, v5
	v_cndmask_b32_e32 v5, v5, v1, vcc_lo
; %bb.67:
	s_or_b32 exec_lo, exec_lo, s1
	s_delay_alu instid0(VALU_DEP_3) | instskip(NEXT) | instid1(VALU_DEP_2)
	v_dual_mov_b32 v3, v6 :: v_dual_mov_b32 v2, v4
	v_mov_b32_e32 v1, v5
.LBB35_68:
	s_or_b32 exec_lo, exec_lo, s0
	s_delay_alu instid0(VALU_DEP_2)
	v_and_b32_e32 v4, 0xff, v3
	ds_swizzle_b32 v5, v1 offset:swizzle(BROADCAST,32,15)
	s_mov_b32 s0, exec_lo
	ds_swizzle_b32 v6, v4 offset:swizzle(BROADCAST,32,15)
	ds_swizzle_b32 v4, v2 offset:swizzle(BROADCAST,32,15)
	s_waitcnt lgkmcnt(1)
	v_and_b32_e32 v7, 1, v6
	s_delay_alu instid0(VALU_DEP_1)
	v_cmpx_eq_u32_e32 1, v7
	s_cbranch_execz .LBB35_72
; %bb.69:
	v_and_b32_e32 v3, 1, v3
	s_mov_b32 s1, exec_lo
	s_delay_alu instid0(VALU_DEP_1)
	v_cmpx_eq_u32_e32 1, v3
	s_cbranch_execz .LBB35_71
; %bb.70:
	s_waitcnt lgkmcnt(0)
	v_cmp_gt_f32_e32 vcc_lo, v2, v4
	v_mov_b32_e32 v6, 1
	v_cndmask_b32_e32 v4, v4, v2, vcc_lo
	v_cmp_lt_f32_e32 vcc_lo, v1, v5
	v_cndmask_b32_e32 v5, v5, v1, vcc_lo
.LBB35_71:
	s_or_b32 exec_lo, exec_lo, s1
	s_waitcnt lgkmcnt(0)
	v_dual_mov_b32 v3, v6 :: v_dual_mov_b32 v2, v4
	s_delay_alu instid0(VALU_DEP_2)
	v_mov_b32_e32 v1, v5
.LBB35_72:
	s_or_b32 exec_lo, exec_lo, s0
	s_waitcnt lgkmcnt(0)
	s_delay_alu instid0(VALU_DEP_2)
	v_dual_mov_b32 v4, 0 :: v_dual_and_b32 v3, 0xff, v3
	s_mov_b32 s0, exec_lo
	ds_bpermute_b32 v5, v4, v3 offset:124
	ds_bpermute_b32 v1, v4, v1 offset:124
	ds_bpermute_b32 v2, v4, v2 offset:124
	v_mbcnt_lo_u32_b32 v3, -1, 0
	s_delay_alu instid0(VALU_DEP_1)
	v_cmpx_eq_u32_e32 0, v3
	s_cbranch_execz .LBB35_74
; %bb.73:
	v_lshrrev_b32_e32 v4, 5, v0
	s_delay_alu instid0(VALU_DEP_1)
	v_mul_u32_u24_e32 v4, 12, v4
	s_waitcnt lgkmcnt(2)
	ds_store_b8 v4, v5 offset:480
	s_waitcnt lgkmcnt(1)
	ds_store_2addr_b32 v4, v1, v2 offset0:121 offset1:122
.LBB35_74:
	s_or_b32 exec_lo, exec_lo, s0
	s_delay_alu instid0(SALU_CYCLE_1)
	s_mov_b32 s0, exec_lo
	s_waitcnt lgkmcnt(0)
	s_barrier
	buffer_gl0_inv
	v_cmpx_gt_u32_e32 32, v0
	s_cbranch_execz .LBB35_88
; %bb.75:
	v_and_b32_e32 v4, 7, v3
	s_mov_b32 s1, exec_lo
	s_delay_alu instid0(VALU_DEP_1) | instskip(SKIP_4) | instid1(VALU_DEP_1)
	v_mul_u32_u24_e32 v1, 12, v4
	v_cmp_ne_u32_e32 vcc_lo, 7, v4
	ds_load_u8 v7, v1 offset:480
	ds_load_2addr_b32 v[1:2], v1 offset0:121 offset1:122
	v_add_co_ci_u32_e32 v5, vcc_lo, 0, v3, vcc_lo
	v_lshlrev_b32_e32 v5, 2, v5
	s_waitcnt lgkmcnt(1)
	v_and_b32_e32 v8, 0xff, v7
	s_waitcnt lgkmcnt(0)
	ds_bpermute_b32 v6, v5, v1
	ds_bpermute_b32 v10, v5, v8
	ds_bpermute_b32 v5, v5, v2
	v_and_b32_e32 v8, 1, v7
	s_delay_alu instid0(VALU_DEP_1)
	v_cmpx_eq_u32_e32 1, v8
	s_cbranch_execz .LBB35_79
; %bb.76:
	s_waitcnt lgkmcnt(1)
	v_and_b32_e32 v8, 1, v10
	s_mov_b32 s2, exec_lo
	s_delay_alu instid0(VALU_DEP_1)
	v_cmpx_eq_u32_e32 1, v8
	s_cbranch_execz .LBB35_78
; %bb.77:
	v_cmp_gt_f32_e32 vcc_lo, v1, v6
	v_mov_b32_e32 v7, 1
	v_cndmask_b32_e32 v1, v1, v6, vcc_lo
	s_waitcnt lgkmcnt(0)
	v_cmp_lt_f32_e32 vcc_lo, v2, v5
	v_cndmask_b32_e32 v2, v2, v5, vcc_lo
.LBB35_78:
	s_or_b32 exec_lo, exec_lo, s2
	s_waitcnt lgkmcnt(0)
	s_delay_alu instid0(VALU_DEP_1)
	v_dual_mov_b32 v10, v7 :: v_dual_mov_b32 v5, v2
	v_mov_b32_e32 v6, v1
.LBB35_79:
	s_or_b32 exec_lo, exec_lo, s1
	v_cmp_gt_u32_e32 vcc_lo, 6, v4
	s_waitcnt lgkmcnt(1)
	v_and_b32_e32 v2, 0xff, v10
	s_mov_b32 s1, exec_lo
	v_cndmask_b32_e64 v1, 0, 1, vcc_lo
	s_delay_alu instid0(VALU_DEP_1) | instskip(NEXT) | instid1(VALU_DEP_1)
	v_lshlrev_b32_e32 v1, 1, v1
	v_add_lshl_u32 v1, v1, v3, 2
	ds_bpermute_b32 v9, v1, v2
	ds_bpermute_b32 v8, v1, v6
	s_waitcnt lgkmcnt(2)
	ds_bpermute_b32 v7, v1, v5
	v_and_b32_e32 v1, 1, v10
	s_delay_alu instid0(VALU_DEP_1)
	v_cmpx_eq_u32_e32 1, v1
	s_cbranch_execz .LBB35_83
; %bb.80:
	s_waitcnt lgkmcnt(2)
	v_and_b32_e32 v1, 1, v9
	s_mov_b32 s2, exec_lo
	s_delay_alu instid0(VALU_DEP_1)
	v_cmpx_eq_u32_e32 1, v1
	s_cbranch_execz .LBB35_82
; %bb.81:
	s_waitcnt lgkmcnt(1)
	v_cmp_gt_f32_e32 vcc_lo, v6, v8
	v_mov_b32_e32 v10, 1
	v_cndmask_b32_e32 v6, v6, v8, vcc_lo
	s_waitcnt lgkmcnt(0)
	v_cmp_lt_f32_e32 vcc_lo, v5, v7
	v_cndmask_b32_e32 v5, v5, v7, vcc_lo
.LBB35_82:
	s_or_b32 exec_lo, exec_lo, s2
	v_mov_b32_e32 v9, v10
	s_waitcnt lgkmcnt(0)
	s_delay_alu instid0(VALU_DEP_2)
	v_dual_mov_b32 v8, v6 :: v_dual_mov_b32 v7, v5
.LBB35_83:
	s_or_b32 exec_lo, exec_lo, s1
	v_cmp_gt_u32_e32 vcc_lo, 4, v4
	s_waitcnt lgkmcnt(2)
	v_and_b32_e32 v2, 0xff, v9
	s_mov_b32 s1, exec_lo
	v_cndmask_b32_e64 v1, 0, 1, vcc_lo
	s_delay_alu instid0(VALU_DEP_1) | instskip(NEXT) | instid1(VALU_DEP_1)
	v_lshlrev_b32_e32 v1, 2, v1
	v_add_lshl_u32 v4, v1, v3, 2
	ds_bpermute_b32 v3, v4, v2
	s_waitcnt lgkmcnt(2)
	ds_bpermute_b32 v1, v4, v8
	s_waitcnt lgkmcnt(2)
	ds_bpermute_b32 v2, v4, v7
	v_and_b32_e32 v4, 1, v9
	s_delay_alu instid0(VALU_DEP_1)
	v_cmpx_eq_u32_e32 1, v4
	s_cbranch_execz .LBB35_87
; %bb.84:
	s_waitcnt lgkmcnt(2)
	v_and_b32_e32 v3, 1, v3
	s_mov_b32 s2, exec_lo
	s_delay_alu instid0(VALU_DEP_1)
	v_cmpx_eq_u32_e32 1, v3
	s_cbranch_execz .LBB35_86
; %bb.85:
	s_waitcnt lgkmcnt(1)
	v_cmp_gt_f32_e32 vcc_lo, v8, v1
	v_dual_mov_b32 v9, 1 :: v_dual_cndmask_b32 v8, v8, v1
	s_waitcnt lgkmcnt(0)
	v_cmp_lt_f32_e32 vcc_lo, v7, v2
	v_cndmask_b32_e32 v7, v7, v2, vcc_lo
.LBB35_86:
	s_or_b32 exec_lo, exec_lo, s2
	s_waitcnt lgkmcnt(0)
	s_delay_alu instid0(VALU_DEP_1)
	v_dual_mov_b32 v3, v9 :: v_dual_mov_b32 v2, v7
	v_mov_b32_e32 v1, v8
.LBB35_87:
	s_or_b32 exec_lo, exec_lo, s1
	s_waitcnt lgkmcnt(2)
	s_delay_alu instid0(VALU_DEP_2)
	v_and_b32_e32 v5, 0xff, v3
.LBB35_88:
	s_or_b32 exec_lo, exec_lo, s0
	s_mov_b32 s0, 0
	s_branch .LBB35_139
.LBB35_89:
                                        ; implicit-def: $vgpr4
                                        ; implicit-def: $vgpr6
	s_branch .LBB35_437
.LBB35_90:
	s_mov_b32 s0, -1
                                        ; implicit-def: $vgpr2
                                        ; implicit-def: $vgpr5
.LBB35_91:
	s_delay_alu instid0(SALU_CYCLE_1)
	s_and_b32 vcc_lo, exec_lo, s0
	s_cbranch_vccz .LBB35_291
; %bb.92:
	s_waitcnt lgkmcnt(1)
	v_dual_mov_b32 v1, 0 :: v_dual_mov_b32 v18, 0
	v_mov_b32_e32 v3, 0
	s_sub_i32 s34, s20, s10
	s_mov_b32 s0, exec_lo
	v_cmpx_gt_u32_e64 s34, v0
	s_cbranch_execz .LBB35_94
; %bb.93:
	s_abs_i32 s1, s19
	v_add_nc_u32_e32 v4, s33, v0
	s_waitcnt lgkmcnt(0)
	v_cvt_f32_u32_e32 v2, s1
	s_sub_i32 s2, 0, s1
	s_delay_alu instid0(VALU_DEP_2) | instskip(NEXT) | instid1(VALU_DEP_2)
	v_sub_nc_u32_e32 v5, 0, v4
	v_rcp_iflag_f32_e32 v2, v2
	v_lshlrev_b32_e32 v1, 2, v0
	s_delay_alu instid0(VALU_DEP_2)
	v_max_i32_e32 v5, v4, v5
	v_ashrrev_i32_e32 v4, 31, v4
	s_waitcnt_depctr 0xfff
	v_mul_f32_e32 v2, 0x4f7ffffe, v2
	global_load_b32 v1, v1, s[14:15]
	v_cvt_u32_f32_e32 v2, v2
	s_delay_alu instid0(VALU_DEP_1) | instskip(NEXT) | instid1(VALU_DEP_1)
	v_mul_lo_u32 v3, s2, v2
	v_mul_hi_u32 v3, v2, v3
	s_delay_alu instid0(VALU_DEP_1) | instskip(NEXT) | instid1(VALU_DEP_1)
	v_add_nc_u32_e32 v2, v2, v3
	v_mul_hi_u32 v2, v5, v2
	s_delay_alu instid0(VALU_DEP_1) | instskip(NEXT) | instid1(VALU_DEP_1)
	v_mul_lo_u32 v2, v2, s1
	v_sub_nc_u32_e32 v2, v5, v2
	s_delay_alu instid0(VALU_DEP_1) | instskip(SKIP_1) | instid1(VALU_DEP_2)
	v_subrev_nc_u32_e32 v3, s1, v2
	v_cmp_le_u32_e32 vcc_lo, s1, v2
	v_cndmask_b32_e32 v2, v2, v3, vcc_lo
	s_delay_alu instid0(VALU_DEP_1) | instskip(SKIP_1) | instid1(VALU_DEP_2)
	v_subrev_nc_u32_e32 v3, s1, v2
	v_cmp_le_u32_e32 vcc_lo, s1, v2
	v_cndmask_b32_e32 v2, v2, v3, vcc_lo
	s_delay_alu instid0(VALU_DEP_1) | instskip(NEXT) | instid1(VALU_DEP_1)
	v_xor_b32_e32 v2, v2, v4
	v_sub_nc_u32_e32 v2, v2, v4
	s_delay_alu instid0(VALU_DEP_1)
	v_cmp_gt_i32_e32 vcc_lo, s18, v2
	v_cndmask_b32_e64 v3, 0, 1, vcc_lo
.LBB35_94:
	s_or_b32 exec_lo, exec_lo, s0
	s_waitcnt lgkmcnt(0)
	v_or_b32_e32 v2, 0x100, v0
	v_mov_b32_e32 v33, 0
	s_delay_alu instid0(VALU_DEP_2) | instskip(NEXT) | instid1(VALU_DEP_1)
	v_cmp_gt_u32_e64 s13, s34, v2
	s_and_saveexec_b32 s0, s13
	s_cbranch_execz .LBB35_96
; %bb.95:
	v_lshlrev_b32_e32 v4, 2, v0
	s_abs_i32 s1, s19
	v_add_nc_u32_e32 v2, s33, v2
	s_sub_i32 s2, 0, s1
	global_load_b32 v18, v4, s[14:15] offset:1024
	v_cvt_f32_u32_e32 v4, s1
	v_sub_nc_u32_e32 v6, 0, v2
	s_delay_alu instid0(VALU_DEP_2) | instskip(NEXT) | instid1(VALU_DEP_1)
	v_rcp_iflag_f32_e32 v4, v4
	v_max_i32_e32 v6, v2, v6
	v_ashrrev_i32_e32 v2, 31, v2
	s_waitcnt_depctr 0xfff
	v_mul_f32_e32 v4, 0x4f7ffffe, v4
	s_delay_alu instid0(VALU_DEP_1) | instskip(NEXT) | instid1(VALU_DEP_1)
	v_cvt_u32_f32_e32 v4, v4
	v_mul_lo_u32 v5, s2, v4
	s_delay_alu instid0(VALU_DEP_1) | instskip(NEXT) | instid1(VALU_DEP_1)
	v_mul_hi_u32 v5, v4, v5
	v_add_nc_u32_e32 v4, v4, v5
	s_delay_alu instid0(VALU_DEP_1) | instskip(NEXT) | instid1(VALU_DEP_1)
	v_mul_hi_u32 v4, v6, v4
	v_mul_lo_u32 v4, v4, s1
	s_delay_alu instid0(VALU_DEP_1) | instskip(NEXT) | instid1(VALU_DEP_1)
	v_sub_nc_u32_e32 v4, v6, v4
	v_subrev_nc_u32_e32 v5, s1, v4
	v_cmp_le_u32_e32 vcc_lo, s1, v4
	s_delay_alu instid0(VALU_DEP_2) | instskip(NEXT) | instid1(VALU_DEP_1)
	v_cndmask_b32_e32 v4, v4, v5, vcc_lo
	v_subrev_nc_u32_e32 v5, s1, v4
	v_cmp_le_u32_e32 vcc_lo, s1, v4
	s_delay_alu instid0(VALU_DEP_2) | instskip(NEXT) | instid1(VALU_DEP_1)
	v_cndmask_b32_e32 v4, v4, v5, vcc_lo
	v_xor_b32_e32 v4, v4, v2
	s_delay_alu instid0(VALU_DEP_1) | instskip(NEXT) | instid1(VALU_DEP_1)
	v_sub_nc_u32_e32 v2, v4, v2
	v_cmp_gt_i32_e32 vcc_lo, s18, v2
	v_cndmask_b32_e64 v33, 0, 1, vcc_lo
.LBB35_96:
	s_or_b32 exec_lo, exec_lo, s0
	v_or_b32_e32 v2, 0x200, v0
	v_dual_mov_b32 v25, 0 :: v_dual_mov_b32 v32, 0
	v_mov_b32_e32 v15, 0
	s_delay_alu instid0(VALU_DEP_3) | instskip(NEXT) | instid1(VALU_DEP_1)
	v_cmp_gt_u32_e64 s12, s34, v2
	s_and_saveexec_b32 s0, s12
	s_cbranch_execz .LBB35_98
; %bb.97:
	v_lshlrev_b32_e32 v4, 2, v0
	s_abs_i32 s1, s19
	v_add_nc_u32_e32 v2, s33, v2
	s_sub_i32 s2, 0, s1
	global_load_b32 v25, v4, s[14:15] offset:2048
	v_cvt_f32_u32_e32 v4, s1
	v_sub_nc_u32_e32 v6, 0, v2
	s_delay_alu instid0(VALU_DEP_2) | instskip(NEXT) | instid1(VALU_DEP_1)
	v_rcp_iflag_f32_e32 v4, v4
	v_max_i32_e32 v6, v2, v6
	v_ashrrev_i32_e32 v2, 31, v2
	s_waitcnt_depctr 0xfff
	v_mul_f32_e32 v4, 0x4f7ffffe, v4
	s_delay_alu instid0(VALU_DEP_1) | instskip(NEXT) | instid1(VALU_DEP_1)
	v_cvt_u32_f32_e32 v4, v4
	v_mul_lo_u32 v5, s2, v4
	s_delay_alu instid0(VALU_DEP_1) | instskip(NEXT) | instid1(VALU_DEP_1)
	v_mul_hi_u32 v5, v4, v5
	v_add_nc_u32_e32 v4, v4, v5
	s_delay_alu instid0(VALU_DEP_1) | instskip(NEXT) | instid1(VALU_DEP_1)
	v_mul_hi_u32 v4, v6, v4
	v_mul_lo_u32 v4, v4, s1
	s_delay_alu instid0(VALU_DEP_1) | instskip(NEXT) | instid1(VALU_DEP_1)
	v_sub_nc_u32_e32 v4, v6, v4
	v_subrev_nc_u32_e32 v5, s1, v4
	v_cmp_le_u32_e32 vcc_lo, s1, v4
	s_delay_alu instid0(VALU_DEP_2) | instskip(NEXT) | instid1(VALU_DEP_1)
	v_cndmask_b32_e32 v4, v4, v5, vcc_lo
	v_subrev_nc_u32_e32 v5, s1, v4
	v_cmp_le_u32_e32 vcc_lo, s1, v4
	s_delay_alu instid0(VALU_DEP_2) | instskip(NEXT) | instid1(VALU_DEP_1)
	v_cndmask_b32_e32 v4, v4, v5, vcc_lo
	v_xor_b32_e32 v4, v4, v2
	s_delay_alu instid0(VALU_DEP_1) | instskip(NEXT) | instid1(VALU_DEP_1)
	v_sub_nc_u32_e32 v2, v4, v2
	v_cmp_gt_i32_e32 vcc_lo, s18, v2
	v_cndmask_b32_e64 v32, 0, 1, vcc_lo
.LBB35_98:
	s_or_b32 exec_lo, exec_lo, s0
	v_or_b32_e32 v2, 0x300, v0
	v_mov_b32_e32 v31, 0
	s_delay_alu instid0(VALU_DEP_2) | instskip(NEXT) | instid1(VALU_DEP_1)
	v_cmp_gt_u32_e64 s11, s34, v2
	s_and_saveexec_b32 s0, s11
	s_cbranch_execz .LBB35_100
; %bb.99:
	v_lshlrev_b32_e32 v4, 2, v0
	s_abs_i32 s1, s19
	v_add_nc_u32_e32 v2, s33, v2
	s_sub_i32 s2, 0, s1
	global_load_b32 v15, v4, s[14:15] offset:3072
	v_cvt_f32_u32_e32 v4, s1
	v_sub_nc_u32_e32 v6, 0, v2
	s_delay_alu instid0(VALU_DEP_2) | instskip(NEXT) | instid1(VALU_DEP_1)
	v_rcp_iflag_f32_e32 v4, v4
	v_max_i32_e32 v6, v2, v6
	v_ashrrev_i32_e32 v2, 31, v2
	s_waitcnt_depctr 0xfff
	v_mul_f32_e32 v4, 0x4f7ffffe, v4
	s_delay_alu instid0(VALU_DEP_1) | instskip(NEXT) | instid1(VALU_DEP_1)
	v_cvt_u32_f32_e32 v4, v4
	v_mul_lo_u32 v5, s2, v4
	s_delay_alu instid0(VALU_DEP_1) | instskip(NEXT) | instid1(VALU_DEP_1)
	v_mul_hi_u32 v5, v4, v5
	v_add_nc_u32_e32 v4, v4, v5
	s_delay_alu instid0(VALU_DEP_1) | instskip(NEXT) | instid1(VALU_DEP_1)
	v_mul_hi_u32 v4, v6, v4
	v_mul_lo_u32 v4, v4, s1
	s_delay_alu instid0(VALU_DEP_1) | instskip(NEXT) | instid1(VALU_DEP_1)
	v_sub_nc_u32_e32 v4, v6, v4
	v_subrev_nc_u32_e32 v5, s1, v4
	v_cmp_le_u32_e32 vcc_lo, s1, v4
	s_delay_alu instid0(VALU_DEP_2) | instskip(NEXT) | instid1(VALU_DEP_1)
	v_cndmask_b32_e32 v4, v4, v5, vcc_lo
	v_subrev_nc_u32_e32 v5, s1, v4
	v_cmp_le_u32_e32 vcc_lo, s1, v4
	s_delay_alu instid0(VALU_DEP_2) | instskip(NEXT) | instid1(VALU_DEP_1)
	v_cndmask_b32_e32 v4, v4, v5, vcc_lo
	v_xor_b32_e32 v4, v4, v2
	s_delay_alu instid0(VALU_DEP_1) | instskip(NEXT) | instid1(VALU_DEP_1)
	v_sub_nc_u32_e32 v2, v4, v2
	v_cmp_gt_i32_e32 vcc_lo, s18, v2
	v_cndmask_b32_e64 v31, 0, 1, vcc_lo
.LBB35_100:
	s_or_b32 exec_lo, exec_lo, s0
	v_or_b32_e32 v2, 0x400, v0
	v_dual_mov_b32 v22, 0 :: v_dual_mov_b32 v13, 0
	v_mov_b32_e32 v30, 0
	s_delay_alu instid0(VALU_DEP_3) | instskip(NEXT) | instid1(VALU_DEP_1)
	v_cmp_gt_u32_e64 s10, s34, v2
	s_and_saveexec_b32 s0, s10
	s_cbranch_execz .LBB35_102
; %bb.101:
	v_lshlrev_b32_e32 v4, 2, v2
	s_abs_i32 s1, s19
	v_add_nc_u32_e32 v2, s33, v2
	s_sub_i32 s2, 0, s1
	global_load_b32 v22, v4, s[14:15]
	v_cvt_f32_u32_e32 v4, s1
	v_sub_nc_u32_e32 v6, 0, v2
	s_delay_alu instid0(VALU_DEP_2) | instskip(NEXT) | instid1(VALU_DEP_1)
	v_rcp_iflag_f32_e32 v4, v4
	v_max_i32_e32 v6, v2, v6
	v_ashrrev_i32_e32 v2, 31, v2
	s_waitcnt_depctr 0xfff
	v_mul_f32_e32 v4, 0x4f7ffffe, v4
	s_delay_alu instid0(VALU_DEP_1) | instskip(NEXT) | instid1(VALU_DEP_1)
	v_cvt_u32_f32_e32 v4, v4
	v_mul_lo_u32 v5, s2, v4
	s_delay_alu instid0(VALU_DEP_1) | instskip(NEXT) | instid1(VALU_DEP_1)
	v_mul_hi_u32 v5, v4, v5
	v_add_nc_u32_e32 v4, v4, v5
	s_delay_alu instid0(VALU_DEP_1) | instskip(NEXT) | instid1(VALU_DEP_1)
	v_mul_hi_u32 v4, v6, v4
	v_mul_lo_u32 v4, v4, s1
	s_delay_alu instid0(VALU_DEP_1) | instskip(NEXT) | instid1(VALU_DEP_1)
	v_sub_nc_u32_e32 v4, v6, v4
	v_subrev_nc_u32_e32 v5, s1, v4
	v_cmp_le_u32_e32 vcc_lo, s1, v4
	s_delay_alu instid0(VALU_DEP_2) | instskip(NEXT) | instid1(VALU_DEP_1)
	v_cndmask_b32_e32 v4, v4, v5, vcc_lo
	v_subrev_nc_u32_e32 v5, s1, v4
	v_cmp_le_u32_e32 vcc_lo, s1, v4
	s_delay_alu instid0(VALU_DEP_2) | instskip(NEXT) | instid1(VALU_DEP_1)
	v_cndmask_b32_e32 v4, v4, v5, vcc_lo
	v_xor_b32_e32 v4, v4, v2
	s_delay_alu instid0(VALU_DEP_1) | instskip(NEXT) | instid1(VALU_DEP_1)
	v_sub_nc_u32_e32 v2, v4, v2
	v_cmp_gt_i32_e32 vcc_lo, s18, v2
	v_cndmask_b32_e64 v30, 0, 1, vcc_lo
.LBB35_102:
	s_or_b32 exec_lo, exec_lo, s0
	v_or_b32_e32 v2, 0x500, v0
	v_mov_b32_e32 v29, 0
	s_delay_alu instid0(VALU_DEP_2) | instskip(NEXT) | instid1(VALU_DEP_1)
	v_cmp_gt_u32_e64 s9, s34, v2
	s_and_saveexec_b32 s0, s9
	s_cbranch_execz .LBB35_104
; %bb.103:
	v_lshlrev_b32_e32 v4, 2, v2
	s_abs_i32 s1, s19
	v_add_nc_u32_e32 v2, s33, v2
	s_sub_i32 s2, 0, s1
	global_load_b32 v13, v4, s[14:15]
	v_cvt_f32_u32_e32 v4, s1
	v_sub_nc_u32_e32 v6, 0, v2
	s_delay_alu instid0(VALU_DEP_2) | instskip(NEXT) | instid1(VALU_DEP_1)
	v_rcp_iflag_f32_e32 v4, v4
	v_max_i32_e32 v6, v2, v6
	v_ashrrev_i32_e32 v2, 31, v2
	s_waitcnt_depctr 0xfff
	v_mul_f32_e32 v4, 0x4f7ffffe, v4
	s_delay_alu instid0(VALU_DEP_1) | instskip(NEXT) | instid1(VALU_DEP_1)
	v_cvt_u32_f32_e32 v4, v4
	v_mul_lo_u32 v5, s2, v4
	s_delay_alu instid0(VALU_DEP_1) | instskip(NEXT) | instid1(VALU_DEP_1)
	v_mul_hi_u32 v5, v4, v5
	v_add_nc_u32_e32 v4, v4, v5
	s_delay_alu instid0(VALU_DEP_1) | instskip(NEXT) | instid1(VALU_DEP_1)
	v_mul_hi_u32 v4, v6, v4
	v_mul_lo_u32 v4, v4, s1
	s_delay_alu instid0(VALU_DEP_1) | instskip(NEXT) | instid1(VALU_DEP_1)
	v_sub_nc_u32_e32 v4, v6, v4
	v_subrev_nc_u32_e32 v5, s1, v4
	v_cmp_le_u32_e32 vcc_lo, s1, v4
	s_delay_alu instid0(VALU_DEP_2) | instskip(NEXT) | instid1(VALU_DEP_1)
	v_cndmask_b32_e32 v4, v4, v5, vcc_lo
	v_subrev_nc_u32_e32 v5, s1, v4
	v_cmp_le_u32_e32 vcc_lo, s1, v4
	s_delay_alu instid0(VALU_DEP_2) | instskip(NEXT) | instid1(VALU_DEP_1)
	v_cndmask_b32_e32 v4, v4, v5, vcc_lo
	v_xor_b32_e32 v4, v4, v2
	s_delay_alu instid0(VALU_DEP_1) | instskip(NEXT) | instid1(VALU_DEP_1)
	v_sub_nc_u32_e32 v2, v4, v2
	v_cmp_gt_i32_e32 vcc_lo, s18, v2
	v_cndmask_b32_e64 v29, 0, 1, vcc_lo
.LBB35_104:
	s_or_b32 exec_lo, exec_lo, s0
	v_or_b32_e32 v2, 0x600, v0
	v_mov_b32_e32 v20, 0
	v_mov_b32_e32 v10, 0
	;; [unrolled: 1-line block ×3, first 2 shown]
	s_delay_alu instid0(VALU_DEP_4) | instskip(NEXT) | instid1(VALU_DEP_1)
	v_cmp_gt_u32_e64 s8, s34, v2
	s_and_saveexec_b32 s0, s8
	s_cbranch_execz .LBB35_106
; %bb.105:
	v_lshlrev_b32_e32 v4, 2, v2
	s_abs_i32 s1, s19
	v_add_nc_u32_e32 v2, s33, v2
	s_sub_i32 s2, 0, s1
	global_load_b32 v20, v4, s[14:15]
	v_cvt_f32_u32_e32 v4, s1
	v_sub_nc_u32_e32 v6, 0, v2
	s_delay_alu instid0(VALU_DEP_2) | instskip(NEXT) | instid1(VALU_DEP_1)
	v_rcp_iflag_f32_e32 v4, v4
	v_max_i32_e32 v6, v2, v6
	v_ashrrev_i32_e32 v2, 31, v2
	s_waitcnt_depctr 0xfff
	v_mul_f32_e32 v4, 0x4f7ffffe, v4
	s_delay_alu instid0(VALU_DEP_1) | instskip(NEXT) | instid1(VALU_DEP_1)
	v_cvt_u32_f32_e32 v4, v4
	v_mul_lo_u32 v5, s2, v4
	s_delay_alu instid0(VALU_DEP_1) | instskip(NEXT) | instid1(VALU_DEP_1)
	v_mul_hi_u32 v5, v4, v5
	v_add_nc_u32_e32 v4, v4, v5
	s_delay_alu instid0(VALU_DEP_1) | instskip(NEXT) | instid1(VALU_DEP_1)
	v_mul_hi_u32 v4, v6, v4
	v_mul_lo_u32 v4, v4, s1
	s_delay_alu instid0(VALU_DEP_1) | instskip(NEXT) | instid1(VALU_DEP_1)
	v_sub_nc_u32_e32 v4, v6, v4
	v_subrev_nc_u32_e32 v5, s1, v4
	v_cmp_le_u32_e32 vcc_lo, s1, v4
	s_delay_alu instid0(VALU_DEP_2) | instskip(NEXT) | instid1(VALU_DEP_1)
	v_cndmask_b32_e32 v4, v4, v5, vcc_lo
	v_subrev_nc_u32_e32 v5, s1, v4
	v_cmp_le_u32_e32 vcc_lo, s1, v4
	s_delay_alu instid0(VALU_DEP_2) | instskip(NEXT) | instid1(VALU_DEP_1)
	v_cndmask_b32_e32 v4, v4, v5, vcc_lo
	v_xor_b32_e32 v4, v4, v2
	s_delay_alu instid0(VALU_DEP_1) | instskip(NEXT) | instid1(VALU_DEP_1)
	v_sub_nc_u32_e32 v2, v4, v2
	v_cmp_gt_i32_e32 vcc_lo, s18, v2
	v_cndmask_b32_e64 v28, 0, 1, vcc_lo
.LBB35_106:
	s_or_b32 exec_lo, exec_lo, s0
	v_or_b32_e32 v2, 0x700, v0
	v_mov_b32_e32 v27, 0
	s_delay_alu instid0(VALU_DEP_2) | instskip(NEXT) | instid1(VALU_DEP_1)
	v_cmp_gt_u32_e64 s7, s34, v2
	s_and_saveexec_b32 s0, s7
	s_cbranch_execz .LBB35_108
; %bb.107:
	v_lshlrev_b32_e32 v4, 2, v2
	s_abs_i32 s1, s19
	v_add_nc_u32_e32 v2, s33, v2
	s_sub_i32 s2, 0, s1
	global_load_b32 v10, v4, s[14:15]
	v_cvt_f32_u32_e32 v4, s1
	v_sub_nc_u32_e32 v6, 0, v2
	s_delay_alu instid0(VALU_DEP_2) | instskip(NEXT) | instid1(VALU_DEP_1)
	v_rcp_iflag_f32_e32 v4, v4
	v_max_i32_e32 v6, v2, v6
	v_ashrrev_i32_e32 v2, 31, v2
	s_waitcnt_depctr 0xfff
	v_mul_f32_e32 v4, 0x4f7ffffe, v4
	s_delay_alu instid0(VALU_DEP_1) | instskip(NEXT) | instid1(VALU_DEP_1)
	v_cvt_u32_f32_e32 v4, v4
	v_mul_lo_u32 v5, s2, v4
	s_delay_alu instid0(VALU_DEP_1) | instskip(NEXT) | instid1(VALU_DEP_1)
	v_mul_hi_u32 v5, v4, v5
	v_add_nc_u32_e32 v4, v4, v5
	s_delay_alu instid0(VALU_DEP_1) | instskip(NEXT) | instid1(VALU_DEP_1)
	v_mul_hi_u32 v4, v6, v4
	v_mul_lo_u32 v4, v4, s1
	s_delay_alu instid0(VALU_DEP_1) | instskip(NEXT) | instid1(VALU_DEP_1)
	v_sub_nc_u32_e32 v4, v6, v4
	v_subrev_nc_u32_e32 v5, s1, v4
	v_cmp_le_u32_e32 vcc_lo, s1, v4
	s_delay_alu instid0(VALU_DEP_2) | instskip(NEXT) | instid1(VALU_DEP_1)
	v_cndmask_b32_e32 v4, v4, v5, vcc_lo
	v_subrev_nc_u32_e32 v5, s1, v4
	v_cmp_le_u32_e32 vcc_lo, s1, v4
	s_delay_alu instid0(VALU_DEP_2) | instskip(NEXT) | instid1(VALU_DEP_1)
	v_cndmask_b32_e32 v4, v4, v5, vcc_lo
	v_xor_b32_e32 v4, v4, v2
	s_delay_alu instid0(VALU_DEP_1) | instskip(NEXT) | instid1(VALU_DEP_1)
	v_sub_nc_u32_e32 v2, v4, v2
	v_cmp_gt_i32_e32 vcc_lo, s18, v2
	v_cndmask_b32_e64 v27, 0, 1, vcc_lo
.LBB35_108:
	s_or_b32 exec_lo, exec_lo, s0
	v_or_b32_e32 v2, 0x800, v0
	v_dual_mov_b32 v17, 0 :: v_dual_mov_b32 v6, 0
	v_mov_b32_e32 v26, 0
	s_delay_alu instid0(VALU_DEP_3) | instskip(NEXT) | instid1(VALU_DEP_1)
	v_cmp_gt_u32_e64 s6, s34, v2
	s_and_saveexec_b32 s0, s6
	s_cbranch_execz .LBB35_110
; %bb.109:
	v_lshlrev_b32_e32 v4, 2, v2
	s_abs_i32 s1, s19
	v_add_nc_u32_e32 v2, s33, v2
	s_sub_i32 s2, 0, s1
	global_load_b32 v17, v4, s[14:15]
	v_cvt_f32_u32_e32 v4, s1
	v_sub_nc_u32_e32 v7, 0, v2
	s_delay_alu instid0(VALU_DEP_2) | instskip(NEXT) | instid1(VALU_DEP_1)
	v_rcp_iflag_f32_e32 v4, v4
	v_max_i32_e32 v7, v2, v7
	v_ashrrev_i32_e32 v2, 31, v2
	s_waitcnt_depctr 0xfff
	v_mul_f32_e32 v4, 0x4f7ffffe, v4
	s_delay_alu instid0(VALU_DEP_1) | instskip(NEXT) | instid1(VALU_DEP_1)
	v_cvt_u32_f32_e32 v4, v4
	v_mul_lo_u32 v5, s2, v4
	s_delay_alu instid0(VALU_DEP_1) | instskip(NEXT) | instid1(VALU_DEP_1)
	v_mul_hi_u32 v5, v4, v5
	v_add_nc_u32_e32 v4, v4, v5
	s_delay_alu instid0(VALU_DEP_1) | instskip(NEXT) | instid1(VALU_DEP_1)
	v_mul_hi_u32 v4, v7, v4
	v_mul_lo_u32 v4, v4, s1
	s_delay_alu instid0(VALU_DEP_1) | instskip(NEXT) | instid1(VALU_DEP_1)
	v_sub_nc_u32_e32 v4, v7, v4
	v_subrev_nc_u32_e32 v5, s1, v4
	v_cmp_le_u32_e32 vcc_lo, s1, v4
	s_delay_alu instid0(VALU_DEP_2) | instskip(NEXT) | instid1(VALU_DEP_1)
	v_cndmask_b32_e32 v4, v4, v5, vcc_lo
	v_subrev_nc_u32_e32 v5, s1, v4
	v_cmp_le_u32_e32 vcc_lo, s1, v4
	s_delay_alu instid0(VALU_DEP_2) | instskip(NEXT) | instid1(VALU_DEP_1)
	v_cndmask_b32_e32 v4, v4, v5, vcc_lo
	v_xor_b32_e32 v4, v4, v2
	s_delay_alu instid0(VALU_DEP_1) | instskip(NEXT) | instid1(VALU_DEP_1)
	v_sub_nc_u32_e32 v2, v4, v2
	v_cmp_gt_i32_e32 vcc_lo, s18, v2
	v_cndmask_b32_e64 v26, 0, 1, vcc_lo
.LBB35_110:
	s_or_b32 exec_lo, exec_lo, s0
	v_or_b32_e32 v2, 0x900, v0
	v_mov_b32_e32 v24, 0
	s_delay_alu instid0(VALU_DEP_2) | instskip(NEXT) | instid1(VALU_DEP_1)
	v_cmp_gt_u32_e64 s5, s34, v2
	s_and_saveexec_b32 s0, s5
	s_cbranch_execz .LBB35_112
; %bb.111:
	v_lshlrev_b32_e32 v4, 2, v2
	s_abs_i32 s1, s19
	v_add_nc_u32_e32 v2, s33, v2
	s_sub_i32 s2, 0, s1
	global_load_b32 v6, v4, s[14:15]
	v_cvt_f32_u32_e32 v4, s1
	v_sub_nc_u32_e32 v7, 0, v2
	s_delay_alu instid0(VALU_DEP_2) | instskip(NEXT) | instid1(VALU_DEP_1)
	v_rcp_iflag_f32_e32 v4, v4
	v_max_i32_e32 v7, v2, v7
	v_ashrrev_i32_e32 v2, 31, v2
	s_waitcnt_depctr 0xfff
	v_mul_f32_e32 v4, 0x4f7ffffe, v4
	s_delay_alu instid0(VALU_DEP_1) | instskip(NEXT) | instid1(VALU_DEP_1)
	v_cvt_u32_f32_e32 v4, v4
	v_mul_lo_u32 v5, s2, v4
	s_delay_alu instid0(VALU_DEP_1) | instskip(NEXT) | instid1(VALU_DEP_1)
	v_mul_hi_u32 v5, v4, v5
	v_add_nc_u32_e32 v4, v4, v5
	s_delay_alu instid0(VALU_DEP_1) | instskip(NEXT) | instid1(VALU_DEP_1)
	v_mul_hi_u32 v4, v7, v4
	v_mul_lo_u32 v4, v4, s1
	s_delay_alu instid0(VALU_DEP_1) | instskip(NEXT) | instid1(VALU_DEP_1)
	v_sub_nc_u32_e32 v4, v7, v4
	v_subrev_nc_u32_e32 v5, s1, v4
	v_cmp_le_u32_e32 vcc_lo, s1, v4
	s_delay_alu instid0(VALU_DEP_2) | instskip(NEXT) | instid1(VALU_DEP_1)
	v_cndmask_b32_e32 v4, v4, v5, vcc_lo
	v_subrev_nc_u32_e32 v5, s1, v4
	v_cmp_le_u32_e32 vcc_lo, s1, v4
	s_delay_alu instid0(VALU_DEP_2) | instskip(NEXT) | instid1(VALU_DEP_1)
	v_cndmask_b32_e32 v4, v4, v5, vcc_lo
	v_xor_b32_e32 v4, v4, v2
	s_delay_alu instid0(VALU_DEP_1) | instskip(NEXT) | instid1(VALU_DEP_1)
	v_sub_nc_u32_e32 v2, v4, v2
	v_cmp_gt_i32_e32 vcc_lo, s18, v2
	v_cndmask_b32_e64 v24, 0, 1, vcc_lo
.LBB35_112:
	s_or_b32 exec_lo, exec_lo, s0
	v_or_b32_e32 v2, 0xa00, v0
	v_dual_mov_b32 v14, 0 :: v_dual_mov_b32 v23, 0
	v_mov_b32_e32 v4, 0
	s_delay_alu instid0(VALU_DEP_3) | instskip(NEXT) | instid1(VALU_DEP_1)
	v_cmp_gt_u32_e64 s4, s34, v2
	s_and_saveexec_b32 s0, s4
	s_cbranch_execz .LBB35_114
; %bb.113:
	v_lshlrev_b32_e32 v5, 2, v2
	s_abs_i32 s1, s19
	v_add_nc_u32_e32 v2, s33, v2
	s_sub_i32 s2, 0, s1
	global_load_b32 v14, v5, s[14:15]
	v_cvt_f32_u32_e32 v5, s1
	v_sub_nc_u32_e32 v8, 0, v2
	s_delay_alu instid0(VALU_DEP_2) | instskip(NEXT) | instid1(VALU_DEP_1)
	v_rcp_iflag_f32_e32 v5, v5
	v_max_i32_e32 v8, v2, v8
	v_ashrrev_i32_e32 v2, 31, v2
	s_waitcnt_depctr 0xfff
	v_mul_f32_e32 v5, 0x4f7ffffe, v5
	s_delay_alu instid0(VALU_DEP_1) | instskip(NEXT) | instid1(VALU_DEP_1)
	v_cvt_u32_f32_e32 v5, v5
	v_mul_lo_u32 v7, s2, v5
	s_delay_alu instid0(VALU_DEP_1) | instskip(NEXT) | instid1(VALU_DEP_1)
	v_mul_hi_u32 v7, v5, v7
	v_add_nc_u32_e32 v5, v5, v7
	s_delay_alu instid0(VALU_DEP_1) | instskip(NEXT) | instid1(VALU_DEP_1)
	v_mul_hi_u32 v5, v8, v5
	v_mul_lo_u32 v5, v5, s1
	s_delay_alu instid0(VALU_DEP_1) | instskip(NEXT) | instid1(VALU_DEP_1)
	v_sub_nc_u32_e32 v5, v8, v5
	v_subrev_nc_u32_e32 v7, s1, v5
	v_cmp_le_u32_e32 vcc_lo, s1, v5
	s_delay_alu instid0(VALU_DEP_2) | instskip(NEXT) | instid1(VALU_DEP_1)
	v_cndmask_b32_e32 v5, v5, v7, vcc_lo
	v_subrev_nc_u32_e32 v7, s1, v5
	v_cmp_le_u32_e32 vcc_lo, s1, v5
	s_delay_alu instid0(VALU_DEP_2) | instskip(NEXT) | instid1(VALU_DEP_1)
	v_cndmask_b32_e32 v5, v5, v7, vcc_lo
	v_xor_b32_e32 v5, v5, v2
	s_delay_alu instid0(VALU_DEP_1) | instskip(NEXT) | instid1(VALU_DEP_1)
	v_sub_nc_u32_e32 v2, v5, v2
	v_cmp_gt_i32_e32 vcc_lo, s18, v2
	v_cndmask_b32_e64 v23, 0, 1, vcc_lo
.LBB35_114:
	s_or_b32 exec_lo, exec_lo, s0
	v_or_b32_e32 v2, 0xb00, v0
	v_mov_b32_e32 v21, 0
	s_delay_alu instid0(VALU_DEP_2) | instskip(NEXT) | instid1(VALU_DEP_1)
	v_cmp_gt_u32_e64 s3, s34, v2
	s_and_saveexec_b32 s0, s3
	s_cbranch_execz .LBB35_116
; %bb.115:
	s_abs_i32 s1, s19
	s_delay_alu instid0(SALU_CYCLE_1) | instskip(SKIP_1) | instid1(VALU_DEP_1)
	v_cvt_f32_u32_e32 v5, s1
	s_sub_i32 s2, 0, s1
	v_rcp_iflag_f32_e32 v5, v5
	v_lshlrev_b32_e32 v4, 2, v2
	v_add_nc_u32_e32 v2, s33, v2
	s_delay_alu instid0(VALU_DEP_1)
	v_sub_nc_u32_e32 v8, 0, v2
	s_waitcnt_depctr 0xfff
	v_mul_f32_e32 v5, 0x4f7ffffe, v5
	global_load_b32 v4, v4, s[14:15]
	v_max_i32_e32 v8, v2, v8
	v_cvt_u32_f32_e32 v5, v5
	s_delay_alu instid0(VALU_DEP_1) | instskip(NEXT) | instid1(VALU_DEP_1)
	v_mul_lo_u32 v7, s2, v5
	v_mul_hi_u32 v7, v5, v7
	s_delay_alu instid0(VALU_DEP_1) | instskip(NEXT) | instid1(VALU_DEP_1)
	v_add_nc_u32_e32 v5, v5, v7
	v_mul_hi_u32 v5, v8, v5
	s_delay_alu instid0(VALU_DEP_1) | instskip(NEXT) | instid1(VALU_DEP_1)
	v_mul_lo_u32 v5, v5, s1
	v_sub_nc_u32_e32 v5, v8, v5
	s_delay_alu instid0(VALU_DEP_1) | instskip(SKIP_1) | instid1(VALU_DEP_2)
	v_subrev_nc_u32_e32 v7, s1, v5
	v_cmp_le_u32_e32 vcc_lo, s1, v5
	v_cndmask_b32_e32 v5, v5, v7, vcc_lo
	v_ashrrev_i32_e32 v2, 31, v2
	s_delay_alu instid0(VALU_DEP_2) | instskip(SKIP_1) | instid1(VALU_DEP_2)
	v_subrev_nc_u32_e32 v7, s1, v5
	v_cmp_le_u32_e32 vcc_lo, s1, v5
	v_cndmask_b32_e32 v5, v5, v7, vcc_lo
	s_delay_alu instid0(VALU_DEP_1) | instskip(NEXT) | instid1(VALU_DEP_1)
	v_xor_b32_e32 v5, v5, v2
	v_sub_nc_u32_e32 v2, v5, v2
	s_delay_alu instid0(VALU_DEP_1)
	v_cmp_gt_i32_e32 vcc_lo, s18, v2
	v_cndmask_b32_e64 v21, 0, 1, vcc_lo
.LBB35_116:
	s_or_b32 exec_lo, exec_lo, s0
	v_or_b32_e32 v2, 0xc00, v0
	v_dual_mov_b32 v19, 0 :: v_dual_mov_b32 v12, 0
	v_mov_b32_e32 v9, 0
	s_delay_alu instid0(VALU_DEP_3) | instskip(NEXT) | instid1(VALU_DEP_1)
	v_cmp_gt_u32_e64 s2, s34, v2
	s_and_saveexec_b32 s0, s2
	s_cbranch_execz .LBB35_118
; %bb.117:
	v_lshlrev_b32_e32 v5, 2, v2
	s_abs_i32 s1, s19
	v_add_nc_u32_e32 v2, s33, v2
	s_sub_i32 s35, 0, s1
	global_load_b32 v12, v5, s[14:15]
	v_cvt_f32_u32_e32 v5, s1
	v_sub_nc_u32_e32 v8, 0, v2
	s_delay_alu instid0(VALU_DEP_2) | instskip(NEXT) | instid1(VALU_DEP_1)
	v_rcp_iflag_f32_e32 v5, v5
	v_max_i32_e32 v8, v2, v8
	v_ashrrev_i32_e32 v2, 31, v2
	s_waitcnt_depctr 0xfff
	v_mul_f32_e32 v5, 0x4f7ffffe, v5
	s_delay_alu instid0(VALU_DEP_1) | instskip(NEXT) | instid1(VALU_DEP_1)
	v_cvt_u32_f32_e32 v5, v5
	v_mul_lo_u32 v7, s35, v5
	s_delay_alu instid0(VALU_DEP_1) | instskip(NEXT) | instid1(VALU_DEP_1)
	v_mul_hi_u32 v7, v5, v7
	v_add_nc_u32_e32 v5, v5, v7
	s_delay_alu instid0(VALU_DEP_1) | instskip(NEXT) | instid1(VALU_DEP_1)
	v_mul_hi_u32 v5, v8, v5
	v_mul_lo_u32 v5, v5, s1
	s_delay_alu instid0(VALU_DEP_1) | instskip(NEXT) | instid1(VALU_DEP_1)
	v_sub_nc_u32_e32 v5, v8, v5
	v_subrev_nc_u32_e32 v7, s1, v5
	v_cmp_le_u32_e32 vcc_lo, s1, v5
	s_delay_alu instid0(VALU_DEP_2) | instskip(NEXT) | instid1(VALU_DEP_1)
	v_cndmask_b32_e32 v5, v5, v7, vcc_lo
	v_subrev_nc_u32_e32 v7, s1, v5
	v_cmp_le_u32_e32 vcc_lo, s1, v5
	s_delay_alu instid0(VALU_DEP_2) | instskip(NEXT) | instid1(VALU_DEP_1)
	v_cndmask_b32_e32 v5, v5, v7, vcc_lo
	v_xor_b32_e32 v5, v5, v2
	s_delay_alu instid0(VALU_DEP_1) | instskip(NEXT) | instid1(VALU_DEP_1)
	v_sub_nc_u32_e32 v2, v5, v2
	v_cmp_gt_i32_e32 vcc_lo, s18, v2
	v_cndmask_b32_e64 v19, 0, 1, vcc_lo
.LBB35_118:
	s_or_b32 exec_lo, exec_lo, s0
	v_or_b32_e32 v2, 0xd00, v0
	v_mov_b32_e32 v11, 0
	s_delay_alu instid0(VALU_DEP_2) | instskip(NEXT) | instid1(VALU_DEP_1)
	v_cmp_gt_u32_e64 s1, s34, v2
	s_and_saveexec_b32 s0, s1
	s_cbranch_execz .LBB35_120
; %bb.119:
	v_lshlrev_b32_e32 v5, 2, v2
	s_abs_i32 s35, s19
	v_add_nc_u32_e32 v2, s33, v2
	s_sub_i32 s36, 0, s35
	global_load_b32 v11, v5, s[14:15]
	v_cvt_f32_u32_e32 v5, s35
	v_sub_nc_u32_e32 v8, 0, v2
	s_delay_alu instid0(VALU_DEP_2) | instskip(NEXT) | instid1(VALU_DEP_1)
	v_rcp_iflag_f32_e32 v5, v5
	v_max_i32_e32 v8, v2, v8
	v_ashrrev_i32_e32 v2, 31, v2
	s_waitcnt_depctr 0xfff
	v_mul_f32_e32 v5, 0x4f7ffffe, v5
	s_delay_alu instid0(VALU_DEP_1) | instskip(NEXT) | instid1(VALU_DEP_1)
	v_cvt_u32_f32_e32 v5, v5
	v_mul_lo_u32 v7, s36, v5
	s_delay_alu instid0(VALU_DEP_1) | instskip(NEXT) | instid1(VALU_DEP_1)
	v_mul_hi_u32 v7, v5, v7
	v_add_nc_u32_e32 v5, v5, v7
	s_delay_alu instid0(VALU_DEP_1) | instskip(NEXT) | instid1(VALU_DEP_1)
	v_mul_hi_u32 v5, v8, v5
	v_mul_lo_u32 v5, v5, s35
	s_delay_alu instid0(VALU_DEP_1) | instskip(NEXT) | instid1(VALU_DEP_1)
	v_sub_nc_u32_e32 v5, v8, v5
	v_subrev_nc_u32_e32 v7, s35, v5
	v_cmp_le_u32_e32 vcc_lo, s35, v5
	s_delay_alu instid0(VALU_DEP_2) | instskip(NEXT) | instid1(VALU_DEP_1)
	v_cndmask_b32_e32 v5, v5, v7, vcc_lo
	v_subrev_nc_u32_e32 v7, s35, v5
	v_cmp_le_u32_e32 vcc_lo, s35, v5
	s_delay_alu instid0(VALU_DEP_2) | instskip(NEXT) | instid1(VALU_DEP_1)
	v_cndmask_b32_e32 v5, v5, v7, vcc_lo
	v_xor_b32_e32 v5, v5, v2
	s_delay_alu instid0(VALU_DEP_1) | instskip(NEXT) | instid1(VALU_DEP_1)
	v_sub_nc_u32_e32 v2, v5, v2
	v_cmp_gt_i32_e32 vcc_lo, s18, v2
	v_cndmask_b32_e64 v9, 0, 1, vcc_lo
.LBB35_120:
	s_or_b32 exec_lo, exec_lo, s0
	v_or_b32_e32 v2, 0xe00, v0
	v_dual_mov_b32 v16, 0 :: v_dual_mov_b32 v5, 0
	v_mov_b32_e32 v8, 0
	s_delay_alu instid0(VALU_DEP_3) | instskip(NEXT) | instid1(VALU_DEP_1)
	v_cmp_gt_u32_e64 s0, s34, v2
	s_and_saveexec_b32 s35, s0
	s_cbranch_execz .LBB35_122
; %bb.121:
	v_lshlrev_b32_e32 v7, 2, v2
	s_abs_i32 s36, s19
	v_add_nc_u32_e32 v2, s33, v2
	s_sub_i32 s37, 0, s36
	global_load_b32 v8, v7, s[14:15]
	v_cvt_f32_u32_e32 v7, s36
	v_sub_nc_u32_e32 v34, 0, v2
	s_delay_alu instid0(VALU_DEP_2) | instskip(NEXT) | instid1(VALU_DEP_1)
	v_rcp_iflag_f32_e32 v7, v7
	v_max_i32_e32 v34, v2, v34
	v_ashrrev_i32_e32 v2, 31, v2
	s_waitcnt_depctr 0xfff
	v_mul_f32_e32 v7, 0x4f7ffffe, v7
	s_delay_alu instid0(VALU_DEP_1) | instskip(NEXT) | instid1(VALU_DEP_1)
	v_cvt_u32_f32_e32 v7, v7
	v_mul_lo_u32 v16, s37, v7
	s_delay_alu instid0(VALU_DEP_1) | instskip(NEXT) | instid1(VALU_DEP_1)
	v_mul_hi_u32 v16, v7, v16
	v_add_nc_u32_e32 v7, v7, v16
	s_delay_alu instid0(VALU_DEP_1) | instskip(NEXT) | instid1(VALU_DEP_1)
	v_mul_hi_u32 v7, v34, v7
	v_mul_lo_u32 v7, v7, s36
	s_delay_alu instid0(VALU_DEP_1) | instskip(NEXT) | instid1(VALU_DEP_1)
	v_sub_nc_u32_e32 v7, v34, v7
	v_subrev_nc_u32_e32 v16, s36, v7
	v_cmp_le_u32_e32 vcc_lo, s36, v7
	s_delay_alu instid0(VALU_DEP_2) | instskip(NEXT) | instid1(VALU_DEP_1)
	v_cndmask_b32_e32 v7, v7, v16, vcc_lo
	v_subrev_nc_u32_e32 v16, s36, v7
	v_cmp_le_u32_e32 vcc_lo, s36, v7
	s_delay_alu instid0(VALU_DEP_2) | instskip(NEXT) | instid1(VALU_DEP_1)
	v_cndmask_b32_e32 v7, v7, v16, vcc_lo
	v_xor_b32_e32 v7, v7, v2
	s_delay_alu instid0(VALU_DEP_1) | instskip(NEXT) | instid1(VALU_DEP_1)
	v_sub_nc_u32_e32 v2, v7, v2
	v_cmp_gt_i32_e32 vcc_lo, s18, v2
	v_cndmask_b32_e64 v16, 0, 1, vcc_lo
.LBB35_122:
	s_or_b32 exec_lo, exec_lo, s35
	v_or_b32_e32 v2, 0xf00, v0
	v_mov_b32_e32 v7, 0
	s_delay_alu instid0(VALU_DEP_2)
	v_cmp_gt_u32_e32 vcc_lo, s34, v2
	s_and_saveexec_b32 s35, vcc_lo
	s_cbranch_execnz .LBB35_162
; %bb.123:
	s_or_b32 exec_lo, exec_lo, s35
	s_waitcnt vmcnt(0)
	v_mov_b32_e32 v2, v1
	s_and_saveexec_b32 s14, s13
	s_cbranch_execnz .LBB35_163
.LBB35_124:
	s_or_b32 exec_lo, exec_lo, s14
	s_and_saveexec_b32 s13, s12
	s_cbranch_execnz .LBB35_168
.LBB35_125:
	s_or_b32 exec_lo, exec_lo, s13
	s_and_saveexec_b32 s12, s11
	s_cbranch_execnz .LBB35_173
.LBB35_126:
	s_or_b32 exec_lo, exec_lo, s12
	s_and_saveexec_b32 s11, s10
	s_cbranch_execnz .LBB35_178
.LBB35_127:
	s_or_b32 exec_lo, exec_lo, s11
	s_and_saveexec_b32 s10, s9
	s_cbranch_execnz .LBB35_183
.LBB35_128:
	s_or_b32 exec_lo, exec_lo, s10
	s_and_saveexec_b32 s9, s8
	s_cbranch_execnz .LBB35_188
.LBB35_129:
	s_or_b32 exec_lo, exec_lo, s9
	s_and_saveexec_b32 s8, s7
	s_cbranch_execnz .LBB35_193
.LBB35_130:
	s_or_b32 exec_lo, exec_lo, s8
	s_and_saveexec_b32 s7, s6
	s_cbranch_execnz .LBB35_198
.LBB35_131:
	s_or_b32 exec_lo, exec_lo, s7
	s_and_saveexec_b32 s6, s5
	s_cbranch_execnz .LBB35_203
.LBB35_132:
	s_or_b32 exec_lo, exec_lo, s6
	s_and_saveexec_b32 s5, s4
	s_cbranch_execnz .LBB35_208
.LBB35_133:
	s_or_b32 exec_lo, exec_lo, s5
	s_and_saveexec_b32 s4, s3
	s_cbranch_execnz .LBB35_213
.LBB35_134:
	s_or_b32 exec_lo, exec_lo, s4
	s_and_saveexec_b32 s3, s2
	s_cbranch_execnz .LBB35_218
.LBB35_135:
	s_or_b32 exec_lo, exec_lo, s3
	s_and_saveexec_b32 s2, s1
	s_cbranch_execnz .LBB35_223
.LBB35_136:
	s_or_b32 exec_lo, exec_lo, s2
	s_and_saveexec_b32 s1, s0
	s_cbranch_execnz .LBB35_228
.LBB35_137:
	s_or_b32 exec_lo, exec_lo, s1
	s_and_saveexec_b32 s0, vcc_lo
	s_cbranch_execnz .LBB35_233
	s_branch .LBB35_238
.LBB35_138:
	s_mov_b32 s0, -1
                                        ; implicit-def: $vgpr2
                                        ; implicit-def: $vgpr5
.LBB35_139:
	s_delay_alu instid0(SALU_CYCLE_1)
	s_and_b32 vcc_lo, exec_lo, s0
	s_cbranch_vccz .LBB35_388
; %bb.140:
	s_waitcnt lgkmcnt(1)
	v_mov_b32_e32 v1, 0
	s_waitcnt lgkmcnt(0)
	v_mov_b32_e32 v7, 0
	v_mov_b32_e32 v3, 0
	s_sub_i32 s8, s20, s8
	s_mov_b32 s0, exec_lo
	v_cmpx_gt_u32_e64 s8, v0
	s_cbranch_execz .LBB35_142
; %bb.141:
	s_abs_i32 s1, s19
	v_add_nc_u32_e32 v4, s9, v0
	v_cvt_f32_u32_e32 v2, s1
	s_sub_i32 s2, 0, s1
	s_delay_alu instid0(VALU_DEP_2) | instskip(NEXT) | instid1(VALU_DEP_2)
	v_sub_nc_u32_e32 v5, 0, v4
	v_rcp_iflag_f32_e32 v2, v2
	v_lshlrev_b32_e32 v1, 2, v0
	s_delay_alu instid0(VALU_DEP_2)
	v_max_i32_e32 v5, v4, v5
	v_ashrrev_i32_e32 v4, 31, v4
	s_waitcnt_depctr 0xfff
	v_mul_f32_e32 v2, 0x4f7ffffe, v2
	global_load_b32 v1, v1, s[6:7]
	v_cvt_u32_f32_e32 v2, v2
	s_delay_alu instid0(VALU_DEP_1) | instskip(NEXT) | instid1(VALU_DEP_1)
	v_mul_lo_u32 v3, s2, v2
	v_mul_hi_u32 v3, v2, v3
	s_delay_alu instid0(VALU_DEP_1) | instskip(NEXT) | instid1(VALU_DEP_1)
	v_add_nc_u32_e32 v2, v2, v3
	v_mul_hi_u32 v2, v5, v2
	s_delay_alu instid0(VALU_DEP_1) | instskip(NEXT) | instid1(VALU_DEP_1)
	v_mul_lo_u32 v2, v2, s1
	v_sub_nc_u32_e32 v2, v5, v2
	s_delay_alu instid0(VALU_DEP_1) | instskip(SKIP_1) | instid1(VALU_DEP_2)
	v_subrev_nc_u32_e32 v3, s1, v2
	v_cmp_le_u32_e32 vcc_lo, s1, v2
	v_cndmask_b32_e32 v2, v2, v3, vcc_lo
	s_delay_alu instid0(VALU_DEP_1) | instskip(SKIP_1) | instid1(VALU_DEP_2)
	v_subrev_nc_u32_e32 v3, s1, v2
	v_cmp_le_u32_e32 vcc_lo, s1, v2
	v_cndmask_b32_e32 v2, v2, v3, vcc_lo
	s_delay_alu instid0(VALU_DEP_1) | instskip(NEXT) | instid1(VALU_DEP_1)
	v_xor_b32_e32 v2, v2, v4
	v_sub_nc_u32_e32 v2, v2, v4
	s_delay_alu instid0(VALU_DEP_1)
	v_cmp_gt_i32_e32 vcc_lo, s18, v2
	v_cndmask_b32_e64 v3, 0, 1, vcc_lo
.LBB35_142:
	s_or_b32 exec_lo, exec_lo, s0
	v_or_b32_e32 v2, 0x100, v0
	v_mov_b32_e32 v17, 0
	s_delay_alu instid0(VALU_DEP_2) | instskip(NEXT) | instid1(VALU_DEP_1)
	v_cmp_gt_u32_e64 s5, s8, v2
	s_and_saveexec_b32 s0, s5
	s_cbranch_execz .LBB35_144
; %bb.143:
	v_lshlrev_b32_e32 v4, 2, v0
	s_abs_i32 s1, s19
	v_add_nc_u32_e32 v2, s9, v2
	s_sub_i32 s2, 0, s1
	global_load_b32 v7, v4, s[6:7] offset:1024
	v_cvt_f32_u32_e32 v4, s1
	v_sub_nc_u32_e32 v6, 0, v2
	s_delay_alu instid0(VALU_DEP_2) | instskip(NEXT) | instid1(VALU_DEP_1)
	v_rcp_iflag_f32_e32 v4, v4
	v_max_i32_e32 v6, v2, v6
	v_ashrrev_i32_e32 v2, 31, v2
	s_waitcnt_depctr 0xfff
	v_mul_f32_e32 v4, 0x4f7ffffe, v4
	s_delay_alu instid0(VALU_DEP_1) | instskip(NEXT) | instid1(VALU_DEP_1)
	v_cvt_u32_f32_e32 v4, v4
	v_mul_lo_u32 v5, s2, v4
	s_delay_alu instid0(VALU_DEP_1) | instskip(NEXT) | instid1(VALU_DEP_1)
	v_mul_hi_u32 v5, v4, v5
	v_add_nc_u32_e32 v4, v4, v5
	s_delay_alu instid0(VALU_DEP_1) | instskip(NEXT) | instid1(VALU_DEP_1)
	v_mul_hi_u32 v4, v6, v4
	v_mul_lo_u32 v4, v4, s1
	s_delay_alu instid0(VALU_DEP_1) | instskip(NEXT) | instid1(VALU_DEP_1)
	v_sub_nc_u32_e32 v4, v6, v4
	v_subrev_nc_u32_e32 v5, s1, v4
	v_cmp_le_u32_e32 vcc_lo, s1, v4
	s_delay_alu instid0(VALU_DEP_2) | instskip(NEXT) | instid1(VALU_DEP_1)
	v_cndmask_b32_e32 v4, v4, v5, vcc_lo
	v_subrev_nc_u32_e32 v5, s1, v4
	v_cmp_le_u32_e32 vcc_lo, s1, v4
	s_delay_alu instid0(VALU_DEP_2) | instskip(NEXT) | instid1(VALU_DEP_1)
	v_cndmask_b32_e32 v4, v4, v5, vcc_lo
	v_xor_b32_e32 v4, v4, v2
	s_delay_alu instid0(VALU_DEP_1) | instskip(NEXT) | instid1(VALU_DEP_1)
	v_sub_nc_u32_e32 v2, v4, v2
	v_cmp_gt_i32_e32 vcc_lo, s18, v2
	v_cndmask_b32_e64 v17, 0, 1, vcc_lo
.LBB35_144:
	s_or_b32 exec_lo, exec_lo, s0
	v_or_b32_e32 v2, 0x200, v0
	v_dual_mov_b32 v11, 0 :: v_dual_mov_b32 v16, 0
	v_mov_b32_e32 v5, 0
	s_delay_alu instid0(VALU_DEP_3) | instskip(NEXT) | instid1(VALU_DEP_1)
	v_cmp_gt_u32_e64 s4, s8, v2
	s_and_saveexec_b32 s0, s4
	s_cbranch_execz .LBB35_146
; %bb.145:
	v_lshlrev_b32_e32 v4, 2, v0
	s_abs_i32 s1, s19
	v_add_nc_u32_e32 v2, s9, v2
	s_sub_i32 s2, 0, s1
	global_load_b32 v11, v4, s[6:7] offset:2048
	v_cvt_f32_u32_e32 v4, s1
	v_sub_nc_u32_e32 v8, 0, v2
	s_delay_alu instid0(VALU_DEP_2) | instskip(NEXT) | instid1(VALU_DEP_1)
	v_rcp_iflag_f32_e32 v4, v4
	v_max_i32_e32 v8, v2, v8
	v_ashrrev_i32_e32 v2, 31, v2
	s_waitcnt_depctr 0xfff
	v_mul_f32_e32 v4, 0x4f7ffffe, v4
	s_delay_alu instid0(VALU_DEP_1) | instskip(NEXT) | instid1(VALU_DEP_1)
	v_cvt_u32_f32_e32 v4, v4
	v_mul_lo_u32 v6, s2, v4
	s_delay_alu instid0(VALU_DEP_1) | instskip(NEXT) | instid1(VALU_DEP_1)
	v_mul_hi_u32 v6, v4, v6
	v_add_nc_u32_e32 v4, v4, v6
	s_delay_alu instid0(VALU_DEP_1) | instskip(NEXT) | instid1(VALU_DEP_1)
	v_mul_hi_u32 v4, v8, v4
	v_mul_lo_u32 v4, v4, s1
	s_delay_alu instid0(VALU_DEP_1) | instskip(NEXT) | instid1(VALU_DEP_1)
	v_sub_nc_u32_e32 v4, v8, v4
	v_subrev_nc_u32_e32 v6, s1, v4
	v_cmp_le_u32_e32 vcc_lo, s1, v4
	s_delay_alu instid0(VALU_DEP_2) | instskip(NEXT) | instid1(VALU_DEP_1)
	v_cndmask_b32_e32 v4, v4, v6, vcc_lo
	v_subrev_nc_u32_e32 v6, s1, v4
	v_cmp_le_u32_e32 vcc_lo, s1, v4
	s_delay_alu instid0(VALU_DEP_2) | instskip(NEXT) | instid1(VALU_DEP_1)
	v_cndmask_b32_e32 v4, v4, v6, vcc_lo
	v_xor_b32_e32 v4, v4, v2
	s_delay_alu instid0(VALU_DEP_1) | instskip(NEXT) | instid1(VALU_DEP_1)
	v_sub_nc_u32_e32 v2, v4, v2
	v_cmp_gt_i32_e32 vcc_lo, s18, v2
	v_cndmask_b32_e64 v16, 0, 1, vcc_lo
.LBB35_146:
	s_or_b32 exec_lo, exec_lo, s0
	v_or_b32_e32 v2, 0x300, v0
	v_mov_b32_e32 v15, 0
	s_delay_alu instid0(VALU_DEP_2) | instskip(NEXT) | instid1(VALU_DEP_1)
	v_cmp_gt_u32_e64 s3, s8, v2
	s_and_saveexec_b32 s0, s3
	s_cbranch_execz .LBB35_148
; %bb.147:
	v_lshlrev_b32_e32 v4, 2, v0
	s_abs_i32 s1, s19
	v_add_nc_u32_e32 v2, s9, v2
	s_sub_i32 s2, 0, s1
	global_load_b32 v5, v4, s[6:7] offset:3072
	v_cvt_f32_u32_e32 v4, s1
	v_sub_nc_u32_e32 v8, 0, v2
	s_delay_alu instid0(VALU_DEP_2) | instskip(NEXT) | instid1(VALU_DEP_1)
	v_rcp_iflag_f32_e32 v4, v4
	v_max_i32_e32 v8, v2, v8
	v_ashrrev_i32_e32 v2, 31, v2
	s_waitcnt_depctr 0xfff
	v_mul_f32_e32 v4, 0x4f7ffffe, v4
	s_delay_alu instid0(VALU_DEP_1) | instskip(NEXT) | instid1(VALU_DEP_1)
	v_cvt_u32_f32_e32 v4, v4
	v_mul_lo_u32 v6, s2, v4
	s_delay_alu instid0(VALU_DEP_1) | instskip(NEXT) | instid1(VALU_DEP_1)
	v_mul_hi_u32 v6, v4, v6
	v_add_nc_u32_e32 v4, v4, v6
	s_delay_alu instid0(VALU_DEP_1) | instskip(NEXT) | instid1(VALU_DEP_1)
	v_mul_hi_u32 v4, v8, v4
	v_mul_lo_u32 v4, v4, s1
	s_delay_alu instid0(VALU_DEP_1) | instskip(NEXT) | instid1(VALU_DEP_1)
	v_sub_nc_u32_e32 v4, v8, v4
	v_subrev_nc_u32_e32 v6, s1, v4
	v_cmp_le_u32_e32 vcc_lo, s1, v4
	s_delay_alu instid0(VALU_DEP_2) | instskip(NEXT) | instid1(VALU_DEP_1)
	v_cndmask_b32_e32 v4, v4, v6, vcc_lo
	v_subrev_nc_u32_e32 v6, s1, v4
	v_cmp_le_u32_e32 vcc_lo, s1, v4
	s_delay_alu instid0(VALU_DEP_2) | instskip(NEXT) | instid1(VALU_DEP_1)
	v_cndmask_b32_e32 v4, v4, v6, vcc_lo
	v_xor_b32_e32 v4, v4, v2
	s_delay_alu instid0(VALU_DEP_1) | instskip(NEXT) | instid1(VALU_DEP_1)
	v_sub_nc_u32_e32 v2, v4, v2
	v_cmp_gt_i32_e32 vcc_lo, s18, v2
	v_cndmask_b32_e64 v15, 0, 1, vcc_lo
.LBB35_148:
	s_or_b32 exec_lo, exec_lo, s0
	v_or_b32_e32 v2, 0x400, v0
	v_mov_b32_e32 v10, 0
	v_mov_b32_e32 v4, 0
	v_mov_b32_e32 v14, 0
	s_delay_alu instid0(VALU_DEP_4) | instskip(NEXT) | instid1(VALU_DEP_1)
	v_cmp_gt_u32_e64 s2, s8, v2
	s_and_saveexec_b32 s0, s2
	s_cbranch_execz .LBB35_150
; %bb.149:
	v_lshlrev_b32_e32 v6, 2, v2
	s_abs_i32 s1, s19
	v_add_nc_u32_e32 v2, s9, v2
	s_sub_i32 s11, 0, s1
	global_load_b32 v10, v6, s[6:7]
	v_cvt_f32_u32_e32 v6, s1
	v_sub_nc_u32_e32 v9, 0, v2
	s_delay_alu instid0(VALU_DEP_2) | instskip(NEXT) | instid1(VALU_DEP_1)
	v_rcp_iflag_f32_e32 v6, v6
	v_max_i32_e32 v9, v2, v9
	v_ashrrev_i32_e32 v2, 31, v2
	s_waitcnt_depctr 0xfff
	v_mul_f32_e32 v6, 0x4f7ffffe, v6
	s_delay_alu instid0(VALU_DEP_1) | instskip(NEXT) | instid1(VALU_DEP_1)
	v_cvt_u32_f32_e32 v6, v6
	v_mul_lo_u32 v8, s11, v6
	s_delay_alu instid0(VALU_DEP_1) | instskip(NEXT) | instid1(VALU_DEP_1)
	v_mul_hi_u32 v8, v6, v8
	v_add_nc_u32_e32 v6, v6, v8
	s_delay_alu instid0(VALU_DEP_1) | instskip(NEXT) | instid1(VALU_DEP_1)
	v_mul_hi_u32 v6, v9, v6
	v_mul_lo_u32 v6, v6, s1
	s_delay_alu instid0(VALU_DEP_1) | instskip(NEXT) | instid1(VALU_DEP_1)
	v_sub_nc_u32_e32 v6, v9, v6
	v_subrev_nc_u32_e32 v8, s1, v6
	v_cmp_le_u32_e32 vcc_lo, s1, v6
	s_delay_alu instid0(VALU_DEP_2) | instskip(NEXT) | instid1(VALU_DEP_1)
	v_cndmask_b32_e32 v6, v6, v8, vcc_lo
	v_subrev_nc_u32_e32 v8, s1, v6
	v_cmp_le_u32_e32 vcc_lo, s1, v6
	s_delay_alu instid0(VALU_DEP_2) | instskip(NEXT) | instid1(VALU_DEP_1)
	v_cndmask_b32_e32 v6, v6, v8, vcc_lo
	v_xor_b32_e32 v6, v6, v2
	s_delay_alu instid0(VALU_DEP_1) | instskip(NEXT) | instid1(VALU_DEP_1)
	v_sub_nc_u32_e32 v2, v6, v2
	v_cmp_gt_i32_e32 vcc_lo, s18, v2
	v_cndmask_b32_e64 v14, 0, 1, vcc_lo
.LBB35_150:
	s_or_b32 exec_lo, exec_lo, s0
	v_or_b32_e32 v2, 0x500, v0
	v_mov_b32_e32 v13, 0
	s_delay_alu instid0(VALU_DEP_2) | instskip(NEXT) | instid1(VALU_DEP_1)
	v_cmp_gt_u32_e64 s1, s8, v2
	s_and_saveexec_b32 s0, s1
	s_cbranch_execz .LBB35_152
; %bb.151:
	v_lshlrev_b32_e32 v4, 2, v2
	s_abs_i32 s11, s19
	v_add_nc_u32_e32 v2, s9, v2
	v_cvt_f32_u32_e32 v6, s11
	s_sub_i32 s12, 0, s11
	global_load_b32 v4, v4, s[6:7]
	v_sub_nc_u32_e32 v9, 0, v2
	v_rcp_iflag_f32_e32 v6, v6
	s_delay_alu instid0(VALU_DEP_1) | instskip(SKIP_3) | instid1(VALU_DEP_1)
	v_max_i32_e32 v9, v2, v9
	v_ashrrev_i32_e32 v2, 31, v2
	s_waitcnt_depctr 0xfff
	v_mul_f32_e32 v6, 0x4f7ffffe, v6
	v_cvt_u32_f32_e32 v6, v6
	s_delay_alu instid0(VALU_DEP_1) | instskip(NEXT) | instid1(VALU_DEP_1)
	v_mul_lo_u32 v8, s12, v6
	v_mul_hi_u32 v8, v6, v8
	s_delay_alu instid0(VALU_DEP_1) | instskip(NEXT) | instid1(VALU_DEP_1)
	v_add_nc_u32_e32 v6, v6, v8
	v_mul_hi_u32 v6, v9, v6
	s_delay_alu instid0(VALU_DEP_1) | instskip(NEXT) | instid1(VALU_DEP_1)
	v_mul_lo_u32 v6, v6, s11
	v_sub_nc_u32_e32 v6, v9, v6
	s_delay_alu instid0(VALU_DEP_1) | instskip(SKIP_1) | instid1(VALU_DEP_2)
	v_subrev_nc_u32_e32 v8, s11, v6
	v_cmp_le_u32_e32 vcc_lo, s11, v6
	v_cndmask_b32_e32 v6, v6, v8, vcc_lo
	s_delay_alu instid0(VALU_DEP_1) | instskip(SKIP_1) | instid1(VALU_DEP_2)
	v_subrev_nc_u32_e32 v8, s11, v6
	v_cmp_le_u32_e32 vcc_lo, s11, v6
	v_cndmask_b32_e32 v6, v6, v8, vcc_lo
	s_delay_alu instid0(VALU_DEP_1) | instskip(NEXT) | instid1(VALU_DEP_1)
	v_xor_b32_e32 v6, v6, v2
	v_sub_nc_u32_e32 v2, v6, v2
	s_delay_alu instid0(VALU_DEP_1)
	v_cmp_gt_i32_e32 vcc_lo, s18, v2
	v_cndmask_b32_e64 v13, 0, 1, vcc_lo
.LBB35_152:
	s_or_b32 exec_lo, exec_lo, s0
	v_or_b32_e32 v2, 0x600, v0
	v_dual_mov_b32 v12, 0 :: v_dual_mov_b32 v9, 0
	v_mov_b32_e32 v6, 0
	s_delay_alu instid0(VALU_DEP_3) | instskip(NEXT) | instid1(VALU_DEP_1)
	v_cmp_gt_u32_e64 s0, s8, v2
	s_and_saveexec_b32 s11, s0
	s_cbranch_execz .LBB35_154
; %bb.153:
	v_lshlrev_b32_e32 v8, 2, v2
	s_abs_i32 s12, s19
	v_add_nc_u32_e32 v2, s9, v2
	s_sub_i32 s13, 0, s12
	global_load_b32 v9, v8, s[6:7]
	v_cvt_f32_u32_e32 v8, s12
	v_sub_nc_u32_e32 v18, 0, v2
	s_delay_alu instid0(VALU_DEP_2) | instskip(NEXT) | instid1(VALU_DEP_1)
	v_rcp_iflag_f32_e32 v8, v8
	v_max_i32_e32 v18, v2, v18
	v_ashrrev_i32_e32 v2, 31, v2
	s_waitcnt_depctr 0xfff
	v_mul_f32_e32 v8, 0x4f7ffffe, v8
	s_delay_alu instid0(VALU_DEP_1) | instskip(NEXT) | instid1(VALU_DEP_1)
	v_cvt_u32_f32_e32 v8, v8
	v_mul_lo_u32 v12, s13, v8
	s_delay_alu instid0(VALU_DEP_1) | instskip(NEXT) | instid1(VALU_DEP_1)
	v_mul_hi_u32 v12, v8, v12
	v_add_nc_u32_e32 v8, v8, v12
	s_delay_alu instid0(VALU_DEP_1) | instskip(NEXT) | instid1(VALU_DEP_1)
	v_mul_hi_u32 v8, v18, v8
	v_mul_lo_u32 v8, v8, s12
	s_delay_alu instid0(VALU_DEP_1) | instskip(NEXT) | instid1(VALU_DEP_1)
	v_sub_nc_u32_e32 v8, v18, v8
	v_subrev_nc_u32_e32 v12, s12, v8
	v_cmp_le_u32_e32 vcc_lo, s12, v8
	s_delay_alu instid0(VALU_DEP_2) | instskip(NEXT) | instid1(VALU_DEP_1)
	v_cndmask_b32_e32 v8, v8, v12, vcc_lo
	v_subrev_nc_u32_e32 v12, s12, v8
	v_cmp_le_u32_e32 vcc_lo, s12, v8
	s_delay_alu instid0(VALU_DEP_2) | instskip(NEXT) | instid1(VALU_DEP_1)
	v_cndmask_b32_e32 v8, v8, v12, vcc_lo
	v_xor_b32_e32 v8, v8, v2
	s_delay_alu instid0(VALU_DEP_1) | instskip(NEXT) | instid1(VALU_DEP_1)
	v_sub_nc_u32_e32 v2, v8, v2
	v_cmp_gt_i32_e32 vcc_lo, s18, v2
	v_cndmask_b32_e64 v12, 0, 1, vcc_lo
.LBB35_154:
	s_or_b32 exec_lo, exec_lo, s11
	v_or_b32_e32 v2, 0x700, v0
	v_mov_b32_e32 v8, 0
	s_delay_alu instid0(VALU_DEP_2)
	v_cmp_gt_u32_e32 vcc_lo, s8, v2
	s_and_saveexec_b32 s11, vcc_lo
	s_cbranch_execnz .LBB35_299
; %bb.155:
	s_or_b32 exec_lo, exec_lo, s11
	s_waitcnt vmcnt(0)
	v_mov_b32_e32 v2, v1
	s_and_saveexec_b32 s6, s5
	s_cbranch_execnz .LBB35_300
.LBB35_156:
	s_or_b32 exec_lo, exec_lo, s6
	s_and_saveexec_b32 s5, s4
	s_cbranch_execnz .LBB35_305
.LBB35_157:
	s_or_b32 exec_lo, exec_lo, s5
	s_and_saveexec_b32 s4, s3
	s_cbranch_execnz .LBB35_310
.LBB35_158:
	s_or_b32 exec_lo, exec_lo, s4
	s_and_saveexec_b32 s3, s2
	s_cbranch_execnz .LBB35_315
.LBB35_159:
	s_or_b32 exec_lo, exec_lo, s3
	s_and_saveexec_b32 s2, s1
	s_cbranch_execnz .LBB35_320
.LBB35_160:
	s_or_b32 exec_lo, exec_lo, s2
	s_and_saveexec_b32 s1, s0
	s_cbranch_execnz .LBB35_325
.LBB35_161:
	s_or_b32 exec_lo, exec_lo, s1
	s_and_saveexec_b32 s0, vcc_lo
	s_cbranch_execnz .LBB35_330
	s_branch .LBB35_335
.LBB35_162:
	v_lshlrev_b32_e32 v5, 2, v2
	v_add_nc_u32_e32 v2, s33, v2
	global_load_b32 v7, v5, s[14:15]
	s_abs_i32 s15, s19
	v_sub_nc_u32_e32 v35, 0, v2
	v_cvt_f32_u32_e32 v5, s15
	s_sub_i32 s14, 0, s15
	s_delay_alu instid0(VALU_DEP_2) | instskip(NEXT) | instid1(VALU_DEP_2)
	v_max_i32_e32 v35, v2, v35
	v_rcp_iflag_f32_e32 v5, v5
	v_ashrrev_i32_e32 v2, 31, v2
	s_waitcnt_depctr 0xfff
	v_mul_f32_e32 v5, 0x4f7ffffe, v5
	s_delay_alu instid0(VALU_DEP_1) | instskip(NEXT) | instid1(VALU_DEP_1)
	v_cvt_u32_f32_e32 v5, v5
	v_mul_lo_u32 v34, s14, v5
	s_delay_alu instid0(VALU_DEP_1) | instskip(NEXT) | instid1(VALU_DEP_1)
	v_mul_hi_u32 v34, v5, v34
	v_add_nc_u32_e32 v5, v5, v34
	s_delay_alu instid0(VALU_DEP_1) | instskip(NEXT) | instid1(VALU_DEP_1)
	v_mul_hi_u32 v5, v35, v5
	v_mul_lo_u32 v5, v5, s15
	s_delay_alu instid0(VALU_DEP_1) | instskip(NEXT) | instid1(VALU_DEP_1)
	v_sub_nc_u32_e32 v5, v35, v5
	v_subrev_nc_u32_e32 v34, s15, v5
	v_cmp_le_u32_e64 s14, s15, v5
	s_delay_alu instid0(VALU_DEP_1) | instskip(NEXT) | instid1(VALU_DEP_1)
	v_cndmask_b32_e64 v5, v5, v34, s14
	v_subrev_nc_u32_e32 v34, s15, v5
	v_cmp_le_u32_e64 s14, s15, v5
	s_delay_alu instid0(VALU_DEP_1) | instskip(NEXT) | instid1(VALU_DEP_1)
	v_cndmask_b32_e64 v5, v5, v34, s14
	v_xor_b32_e32 v5, v5, v2
	s_delay_alu instid0(VALU_DEP_1) | instskip(NEXT) | instid1(VALU_DEP_1)
	v_sub_nc_u32_e32 v2, v5, v2
	v_cmp_gt_i32_e64 s14, s18, v2
	s_delay_alu instid0(VALU_DEP_1)
	v_cndmask_b32_e64 v5, 0, 1, s14
	s_or_b32 exec_lo, exec_lo, s35
	s_waitcnt vmcnt(1)
	v_mov_b32_e32 v2, v1
	s_and_saveexec_b32 s14, s13
	s_cbranch_execz .LBB35_124
.LBB35_163:
	v_and_b32_e32 v2, 1, v3
	s_delay_alu instid0(VALU_DEP_1) | instskip(SKIP_1) | instid1(VALU_DEP_2)
	v_cmp_eq_u32_e64 s13, 1, v2
	v_mov_b32_e32 v2, v18
	s_and_saveexec_b32 s15, s13
	s_cbranch_execz .LBB35_167
; %bb.164:
	v_and_b32_e32 v2, 1, v33
	s_delay_alu instid0(VALU_DEP_1) | instskip(SKIP_1) | instid1(VALU_DEP_2)
	v_cmp_eq_u32_e64 s13, 1, v2
	v_mov_b32_e32 v2, v1
	s_and_saveexec_b32 s33, s13
; %bb.165:
	v_cmp_lt_f32_e64 s13, v1, v18
	v_mov_b32_e32 v3, 1
	s_delay_alu instid0(VALU_DEP_2) | instskip(SKIP_1) | instid1(VALU_DEP_1)
	v_cndmask_b32_e64 v33, v1, v18, s13
	v_cmp_lt_f32_e64 s13, v18, v1
	v_cndmask_b32_e64 v2, v1, v18, s13
	s_delay_alu instid0(VALU_DEP_3)
	v_mov_b32_e32 v1, v33
; %bb.166:
	s_or_b32 exec_lo, exec_lo, s33
	s_delay_alu instid0(VALU_DEP_1)
	v_dual_mov_b32 v18, v1 :: v_dual_mov_b32 v33, v3
.LBB35_167:
	s_or_b32 exec_lo, exec_lo, s15
	s_delay_alu instid0(VALU_DEP_1) | instskip(SKIP_1) | instid1(VALU_DEP_3)
	v_mov_b32_e32 v3, v33
	v_mov_b32_e32 v1, v2
	;; [unrolled: 1-line block ×3, first 2 shown]
	s_or_b32 exec_lo, exec_lo, s14
	s_and_saveexec_b32 s13, s12
	s_cbranch_execz .LBB35_125
.LBB35_168:
	v_and_b32_e32 v18, 1, v3
	s_delay_alu instid0(VALU_DEP_1) | instskip(SKIP_1) | instid1(VALU_DEP_2)
	v_cmp_eq_u32_e64 s12, 1, v18
	v_mov_b32_e32 v18, v25
	s_and_saveexec_b32 s14, s12
	s_cbranch_execz .LBB35_172
; %bb.169:
	v_and_b32_e32 v18, 1, v32
	s_mov_b32 s15, exec_lo
	s_delay_alu instid0(VALU_DEP_1)
	v_cmpx_eq_u32_e32 1, v18
; %bb.170:
	v_cmp_lt_f32_e64 s12, v2, v25
	v_mov_b32_e32 v3, 1
	s_delay_alu instid0(VALU_DEP_2) | instskip(SKIP_1) | instid1(VALU_DEP_1)
	v_cndmask_b32_e64 v2, v2, v25, s12
	v_cmp_lt_f32_e64 s12, v25, v1
	v_cndmask_b32_e64 v1, v1, v25, s12
; %bb.171:
	s_or_b32 exec_lo, exec_lo, s15
	s_delay_alu instid0(VALU_DEP_1)
	v_dual_mov_b32 v25, v2 :: v_dual_mov_b32 v18, v1
	v_mov_b32_e32 v32, v3
.LBB35_172:
	s_or_b32 exec_lo, exec_lo, s14
	s_delay_alu instid0(VALU_DEP_1) | instskip(NEXT) | instid1(VALU_DEP_2)
	v_dual_mov_b32 v3, v32 :: v_dual_mov_b32 v2, v25
	v_mov_b32_e32 v1, v18
	s_or_b32 exec_lo, exec_lo, s13
	s_and_saveexec_b32 s12, s11
	s_cbranch_execz .LBB35_126
.LBB35_173:
	v_and_b32_e32 v18, 1, v3
	s_delay_alu instid0(VALU_DEP_1) | instskip(SKIP_1) | instid1(VALU_DEP_2)
	v_cmp_eq_u32_e64 s11, 1, v18
	v_mov_b32_e32 v18, v15
	s_and_saveexec_b32 s13, s11
	s_cbranch_execz .LBB35_177
; %bb.174:
	v_and_b32_e32 v18, 1, v31
	s_mov_b32 s14, exec_lo
	s_delay_alu instid0(VALU_DEP_1)
	v_cmpx_eq_u32_e32 1, v18
; %bb.175:
	v_cmp_lt_f32_e64 s11, v2, v15
	v_mov_b32_e32 v3, 1
	s_delay_alu instid0(VALU_DEP_2) | instskip(SKIP_1) | instid1(VALU_DEP_1)
	v_cndmask_b32_e64 v2, v2, v15, s11
	v_cmp_lt_f32_e64 s11, v15, v1
	v_cndmask_b32_e64 v1, v1, v15, s11
; %bb.176:
	s_or_b32 exec_lo, exec_lo, s14
	s_delay_alu instid0(VALU_DEP_1)
	v_dual_mov_b32 v15, v2 :: v_dual_mov_b32 v18, v1
	v_mov_b32_e32 v31, v3
.LBB35_177:
	s_or_b32 exec_lo, exec_lo, s13
	s_delay_alu instid0(VALU_DEP_1) | instskip(NEXT) | instid1(VALU_DEP_2)
	v_mov_b32_e32 v3, v31
	v_dual_mov_b32 v1, v18 :: v_dual_mov_b32 v2, v15
	s_or_b32 exec_lo, exec_lo, s12
	s_and_saveexec_b32 s11, s10
	s_cbranch_execz .LBB35_127
.LBB35_178:
	v_and_b32_e32 v15, 1, v3
	s_delay_alu instid0(VALU_DEP_1) | instskip(SKIP_1) | instid1(VALU_DEP_2)
	v_cmp_eq_u32_e64 s10, 1, v15
	v_mov_b32_e32 v15, v22
	s_and_saveexec_b32 s12, s10
	s_cbranch_execz .LBB35_182
; %bb.179:
	v_and_b32_e32 v15, 1, v30
	s_mov_b32 s13, exec_lo
	s_delay_alu instid0(VALU_DEP_1)
	v_cmpx_eq_u32_e32 1, v15
; %bb.180:
	v_cmp_lt_f32_e64 s10, v2, v22
	v_mov_b32_e32 v3, 1
	s_delay_alu instid0(VALU_DEP_2) | instskip(SKIP_1) | instid1(VALU_DEP_1)
	v_cndmask_b32_e64 v2, v2, v22, s10
	v_cmp_lt_f32_e64 s10, v22, v1
	v_cndmask_b32_e64 v1, v1, v22, s10
; %bb.181:
	s_or_b32 exec_lo, exec_lo, s13
	s_delay_alu instid0(VALU_DEP_1)
	v_dual_mov_b32 v22, v2 :: v_dual_mov_b32 v15, v1
	v_mov_b32_e32 v30, v3
.LBB35_182:
	s_or_b32 exec_lo, exec_lo, s12
	s_delay_alu instid0(VALU_DEP_1) | instskip(NEXT) | instid1(VALU_DEP_2)
	v_mov_b32_e32 v3, v30
	v_dual_mov_b32 v1, v15 :: v_dual_mov_b32 v2, v22
	s_or_b32 exec_lo, exec_lo, s11
	s_and_saveexec_b32 s10, s9
	s_cbranch_execz .LBB35_128
.LBB35_183:
	v_and_b32_e32 v15, 1, v3
	s_delay_alu instid0(VALU_DEP_1) | instskip(SKIP_1) | instid1(VALU_DEP_2)
	v_cmp_eq_u32_e64 s9, 1, v15
	v_mov_b32_e32 v15, v13
	s_and_saveexec_b32 s11, s9
	s_cbranch_execz .LBB35_187
; %bb.184:
	v_and_b32_e32 v15, 1, v29
	s_mov_b32 s12, exec_lo
	s_delay_alu instid0(VALU_DEP_1)
	v_cmpx_eq_u32_e32 1, v15
; %bb.185:
	v_cmp_lt_f32_e64 s9, v2, v13
	v_mov_b32_e32 v3, 1
	s_delay_alu instid0(VALU_DEP_2) | instskip(SKIP_1) | instid1(VALU_DEP_1)
	v_cndmask_b32_e64 v2, v2, v13, s9
	v_cmp_lt_f32_e64 s9, v13, v1
	v_cndmask_b32_e64 v1, v1, v13, s9
; %bb.186:
	s_or_b32 exec_lo, exec_lo, s12
	s_delay_alu instid0(VALU_DEP_3) | instskip(NEXT) | instid1(VALU_DEP_2)
	v_mov_b32_e32 v13, v2
	v_mov_b32_e32 v15, v1
	;; [unrolled: 1-line block ×3, first 2 shown]
.LBB35_187:
	s_or_b32 exec_lo, exec_lo, s11
	s_delay_alu instid0(VALU_DEP_1) | instskip(NEXT) | instid1(VALU_DEP_2)
	v_mov_b32_e32 v3, v29
	v_dual_mov_b32 v1, v15 :: v_dual_mov_b32 v2, v13
	s_or_b32 exec_lo, exec_lo, s10
	s_and_saveexec_b32 s9, s8
	s_cbranch_execz .LBB35_129
.LBB35_188:
	v_and_b32_e32 v13, 1, v3
	s_delay_alu instid0(VALU_DEP_1) | instskip(SKIP_1) | instid1(VALU_DEP_2)
	v_cmp_eq_u32_e64 s8, 1, v13
	v_mov_b32_e32 v13, v20
	s_and_saveexec_b32 s10, s8
	s_cbranch_execz .LBB35_192
; %bb.189:
	v_and_b32_e32 v13, 1, v28
	s_mov_b32 s11, exec_lo
	s_delay_alu instid0(VALU_DEP_1)
	v_cmpx_eq_u32_e32 1, v13
; %bb.190:
	v_cmp_lt_f32_e64 s8, v2, v20
	v_mov_b32_e32 v3, 1
	s_delay_alu instid0(VALU_DEP_2) | instskip(SKIP_1) | instid1(VALU_DEP_1)
	v_cndmask_b32_e64 v2, v2, v20, s8
	v_cmp_lt_f32_e64 s8, v20, v1
	v_cndmask_b32_e64 v1, v1, v20, s8
; %bb.191:
	s_or_b32 exec_lo, exec_lo, s11
	s_delay_alu instid0(VALU_DEP_1)
	v_dual_mov_b32 v20, v2 :: v_dual_mov_b32 v13, v1
	v_mov_b32_e32 v28, v3
.LBB35_192:
	s_or_b32 exec_lo, exec_lo, s10
	s_delay_alu instid0(VALU_DEP_1) | instskip(NEXT) | instid1(VALU_DEP_2)
	v_mov_b32_e32 v3, v28
	v_dual_mov_b32 v1, v13 :: v_dual_mov_b32 v2, v20
	s_or_b32 exec_lo, exec_lo, s9
	s_and_saveexec_b32 s8, s7
	s_cbranch_execz .LBB35_130
.LBB35_193:
	v_and_b32_e32 v13, 1, v3
	s_delay_alu instid0(VALU_DEP_1) | instskip(SKIP_1) | instid1(VALU_DEP_2)
	v_cmp_eq_u32_e64 s7, 1, v13
	v_mov_b32_e32 v13, v10
	s_and_saveexec_b32 s9, s7
	s_cbranch_execz .LBB35_197
; %bb.194:
	v_and_b32_e32 v13, 1, v27
	s_mov_b32 s10, exec_lo
	s_delay_alu instid0(VALU_DEP_1)
	v_cmpx_eq_u32_e32 1, v13
; %bb.195:
	v_cmp_lt_f32_e64 s7, v2, v10
	v_mov_b32_e32 v3, 1
	s_delay_alu instid0(VALU_DEP_2) | instskip(SKIP_1) | instid1(VALU_DEP_1)
	v_cndmask_b32_e64 v2, v2, v10, s7
	v_cmp_lt_f32_e64 s7, v10, v1
	v_cndmask_b32_e64 v1, v1, v10, s7
; %bb.196:
	s_or_b32 exec_lo, exec_lo, s10
	s_delay_alu instid0(VALU_DEP_1)
	v_dual_mov_b32 v10, v2 :: v_dual_mov_b32 v13, v1
	v_mov_b32_e32 v27, v3
.LBB35_197:
	s_or_b32 exec_lo, exec_lo, s9
	s_delay_alu instid0(VALU_DEP_1) | instskip(NEXT) | instid1(VALU_DEP_2)
	v_dual_mov_b32 v3, v27 :: v_dual_mov_b32 v2, v10
	v_mov_b32_e32 v1, v13
	s_or_b32 exec_lo, exec_lo, s8
	s_and_saveexec_b32 s7, s6
	s_cbranch_execz .LBB35_131
.LBB35_198:
	v_and_b32_e32 v10, 1, v3
	s_delay_alu instid0(VALU_DEP_1) | instskip(SKIP_1) | instid1(VALU_DEP_2)
	v_cmp_eq_u32_e64 s6, 1, v10
	v_mov_b32_e32 v10, v17
	s_and_saveexec_b32 s8, s6
	s_cbranch_execz .LBB35_202
; %bb.199:
	v_and_b32_e32 v10, 1, v26
	s_mov_b32 s9, exec_lo
	s_delay_alu instid0(VALU_DEP_1)
	v_cmpx_eq_u32_e32 1, v10
; %bb.200:
	v_cmp_lt_f32_e64 s6, v2, v17
	v_mov_b32_e32 v3, 1
	s_delay_alu instid0(VALU_DEP_2) | instskip(SKIP_1) | instid1(VALU_DEP_1)
	v_cndmask_b32_e64 v2, v2, v17, s6
	v_cmp_lt_f32_e64 s6, v17, v1
	v_cndmask_b32_e64 v1, v1, v17, s6
; %bb.201:
	s_or_b32 exec_lo, exec_lo, s9
	s_delay_alu instid0(VALU_DEP_1)
	v_dual_mov_b32 v17, v2 :: v_dual_mov_b32 v10, v1
	v_mov_b32_e32 v26, v3
.LBB35_202:
	s_or_b32 exec_lo, exec_lo, s8
	s_delay_alu instid0(VALU_DEP_1) | instskip(NEXT) | instid1(VALU_DEP_2)
	v_dual_mov_b32 v3, v26 :: v_dual_mov_b32 v2, v17
	v_mov_b32_e32 v1, v10
	s_or_b32 exec_lo, exec_lo, s7
	s_and_saveexec_b32 s6, s5
	s_cbranch_execz .LBB35_132
.LBB35_203:
	v_and_b32_e32 v10, 1, v3
	s_delay_alu instid0(VALU_DEP_1) | instskip(SKIP_1) | instid1(VALU_DEP_2)
	v_cmp_eq_u32_e64 s5, 1, v10
	v_mov_b32_e32 v10, v6
	s_and_saveexec_b32 s7, s5
	s_cbranch_execz .LBB35_207
; %bb.204:
	v_and_b32_e32 v10, 1, v24
	s_mov_b32 s8, exec_lo
	s_delay_alu instid0(VALU_DEP_1)
	v_cmpx_eq_u32_e32 1, v10
; %bb.205:
	v_cmp_lt_f32_e64 s5, v2, v6
	v_mov_b32_e32 v3, 1
	s_delay_alu instid0(VALU_DEP_2) | instskip(SKIP_1) | instid1(VALU_DEP_1)
	v_cndmask_b32_e64 v2, v2, v6, s5
	v_cmp_lt_f32_e64 s5, v6, v1
	v_cndmask_b32_e64 v1, v1, v6, s5
; %bb.206:
	s_or_b32 exec_lo, exec_lo, s8
	s_delay_alu instid0(VALU_DEP_3) | instskip(NEXT) | instid1(VALU_DEP_2)
	v_mov_b32_e32 v6, v2
	v_mov_b32_e32 v10, v1
	;; [unrolled: 1-line block ×3, first 2 shown]
.LBB35_207:
	s_or_b32 exec_lo, exec_lo, s7
	s_delay_alu instid0(VALU_DEP_1) | instskip(NEXT) | instid1(VALU_DEP_2)
	v_dual_mov_b32 v3, v24 :: v_dual_mov_b32 v2, v6
	v_mov_b32_e32 v1, v10
	s_or_b32 exec_lo, exec_lo, s6
	s_and_saveexec_b32 s5, s4
	s_cbranch_execz .LBB35_133
.LBB35_208:
	v_and_b32_e32 v6, 1, v3
	s_delay_alu instid0(VALU_DEP_1) | instskip(SKIP_1) | instid1(VALU_DEP_2)
	v_cmp_eq_u32_e64 s4, 1, v6
	v_mov_b32_e32 v6, v14
	s_and_saveexec_b32 s6, s4
	s_cbranch_execz .LBB35_212
; %bb.209:
	v_and_b32_e32 v6, 1, v23
	s_mov_b32 s7, exec_lo
	s_delay_alu instid0(VALU_DEP_1)
	v_cmpx_eq_u32_e32 1, v6
; %bb.210:
	v_cmp_lt_f32_e64 s4, v2, v14
	v_mov_b32_e32 v3, 1
	s_delay_alu instid0(VALU_DEP_2) | instskip(SKIP_1) | instid1(VALU_DEP_1)
	v_cndmask_b32_e64 v2, v2, v14, s4
	v_cmp_lt_f32_e64 s4, v14, v1
	v_cndmask_b32_e64 v1, v1, v14, s4
; %bb.211:
	s_or_b32 exec_lo, exec_lo, s7
	s_delay_alu instid0(VALU_DEP_3) | instskip(NEXT) | instid1(VALU_DEP_2)
	v_dual_mov_b32 v14, v2 :: v_dual_mov_b32 v23, v3
	v_mov_b32_e32 v6, v1
.LBB35_212:
	s_or_b32 exec_lo, exec_lo, s6
	s_delay_alu instid0(VALU_DEP_2) | instskip(NEXT) | instid1(VALU_DEP_2)
	v_dual_mov_b32 v3, v23 :: v_dual_mov_b32 v2, v14
	v_mov_b32_e32 v1, v6
	s_or_b32 exec_lo, exec_lo, s5
	s_and_saveexec_b32 s4, s3
	s_cbranch_execz .LBB35_134
.LBB35_213:
	v_and_b32_e32 v6, 1, v3
	s_delay_alu instid0(VALU_DEP_1) | instskip(SKIP_1) | instid1(VALU_DEP_2)
	v_cmp_eq_u32_e64 s3, 1, v6
	v_mov_b32_e32 v6, v4
	s_and_saveexec_b32 s5, s3
	s_cbranch_execz .LBB35_217
; %bb.214:
	v_and_b32_e32 v6, 1, v21
	s_mov_b32 s6, exec_lo
	s_delay_alu instid0(VALU_DEP_1)
	v_cmpx_eq_u32_e32 1, v6
; %bb.215:
	v_cmp_lt_f32_e64 s3, v2, v4
	v_mov_b32_e32 v3, 1
	s_delay_alu instid0(VALU_DEP_2) | instskip(SKIP_1) | instid1(VALU_DEP_1)
	v_cndmask_b32_e64 v2, v2, v4, s3
	v_cmp_lt_f32_e64 s3, v4, v1
	v_cndmask_b32_e64 v1, v1, v4, s3
; %bb.216:
	s_or_b32 exec_lo, exec_lo, s6
	s_delay_alu instid0(VALU_DEP_3) | instskip(NEXT) | instid1(VALU_DEP_2)
	v_dual_mov_b32 v4, v2 :: v_dual_mov_b32 v21, v3
	v_mov_b32_e32 v6, v1
.LBB35_217:
	s_or_b32 exec_lo, exec_lo, s5
	s_delay_alu instid0(VALU_DEP_2) | instskip(NEXT) | instid1(VALU_DEP_2)
	v_dual_mov_b32 v3, v21 :: v_dual_mov_b32 v2, v4
	v_mov_b32_e32 v1, v6
	s_or_b32 exec_lo, exec_lo, s4
	s_and_saveexec_b32 s3, s2
	s_cbranch_execz .LBB35_135
.LBB35_218:
	v_and_b32_e32 v4, 1, v3
	s_delay_alu instid0(VALU_DEP_1) | instskip(SKIP_1) | instid1(VALU_DEP_2)
	v_cmp_eq_u32_e64 s2, 1, v4
	v_mov_b32_e32 v4, v12
	s_and_saveexec_b32 s4, s2
	s_cbranch_execz .LBB35_222
; %bb.219:
	v_and_b32_e32 v4, 1, v19
	s_mov_b32 s5, exec_lo
	s_delay_alu instid0(VALU_DEP_1)
	v_cmpx_eq_u32_e32 1, v4
; %bb.220:
	v_cmp_lt_f32_e64 s2, v2, v12
	v_mov_b32_e32 v3, 1
	s_delay_alu instid0(VALU_DEP_2) | instskip(SKIP_1) | instid1(VALU_DEP_1)
	v_cndmask_b32_e64 v2, v2, v12, s2
	v_cmp_lt_f32_e64 s2, v12, v1
	v_cndmask_b32_e64 v1, v1, v12, s2
; %bb.221:
	s_or_b32 exec_lo, exec_lo, s5
	s_delay_alu instid0(VALU_DEP_3) | instskip(NEXT) | instid1(VALU_DEP_2)
	v_dual_mov_b32 v12, v2 :: v_dual_mov_b32 v19, v3
	v_mov_b32_e32 v4, v1
.LBB35_222:
	s_or_b32 exec_lo, exec_lo, s4
	s_delay_alu instid0(VALU_DEP_2) | instskip(NEXT) | instid1(VALU_DEP_2)
	v_dual_mov_b32 v3, v19 :: v_dual_mov_b32 v2, v12
	v_mov_b32_e32 v1, v4
	s_or_b32 exec_lo, exec_lo, s3
	s_and_saveexec_b32 s2, s1
	s_cbranch_execz .LBB35_136
.LBB35_223:
	v_and_b32_e32 v4, 1, v3
	s_delay_alu instid0(VALU_DEP_1) | instskip(SKIP_1) | instid1(VALU_DEP_2)
	v_cmp_eq_u32_e64 s1, 1, v4
	v_mov_b32_e32 v4, v11
	s_and_saveexec_b32 s3, s1
	s_cbranch_execz .LBB35_227
; %bb.224:
	v_and_b32_e32 v4, 1, v9
	s_mov_b32 s4, exec_lo
	s_delay_alu instid0(VALU_DEP_1)
	v_cmpx_eq_u32_e32 1, v4
; %bb.225:
	v_cmp_lt_f32_e64 s1, v2, v11
	v_mov_b32_e32 v3, 1
	s_delay_alu instid0(VALU_DEP_2) | instskip(SKIP_1) | instid1(VALU_DEP_1)
	v_cndmask_b32_e64 v2, v2, v11, s1
	v_cmp_lt_f32_e64 s1, v11, v1
	v_cndmask_b32_e64 v1, v1, v11, s1
; %bb.226:
	s_or_b32 exec_lo, exec_lo, s4
	s_delay_alu instid0(VALU_DEP_1)
	v_dual_mov_b32 v11, v2 :: v_dual_mov_b32 v4, v1
	v_mov_b32_e32 v9, v3
.LBB35_227:
	s_or_b32 exec_lo, exec_lo, s3
	s_delay_alu instid0(VALU_DEP_1) | instskip(NEXT) | instid1(VALU_DEP_2)
	v_dual_mov_b32 v3, v9 :: v_dual_mov_b32 v2, v11
	v_mov_b32_e32 v1, v4
	s_or_b32 exec_lo, exec_lo, s2
	s_and_saveexec_b32 s1, s0
	s_cbranch_execz .LBB35_137
.LBB35_228:
	v_and_b32_e32 v4, 1, v3
	s_delay_alu instid0(VALU_DEP_1) | instskip(SKIP_1) | instid1(VALU_DEP_2)
	v_cmp_eq_u32_e64 s0, 1, v4
	v_mov_b32_e32 v4, v8
	s_and_saveexec_b32 s2, s0
	s_cbranch_execz .LBB35_232
; %bb.229:
	v_and_b32_e32 v4, 1, v16
	s_mov_b32 s3, exec_lo
	s_delay_alu instid0(VALU_DEP_1)
	v_cmpx_eq_u32_e32 1, v4
; %bb.230:
	v_cmp_lt_f32_e64 s0, v2, v8
	v_mov_b32_e32 v3, 1
	s_delay_alu instid0(VALU_DEP_2) | instskip(SKIP_1) | instid1(VALU_DEP_1)
	v_cndmask_b32_e64 v2, v2, v8, s0
	v_cmp_lt_f32_e64 s0, v8, v1
	v_cndmask_b32_e64 v1, v1, v8, s0
; %bb.231:
	s_or_b32 exec_lo, exec_lo, s3
	s_delay_alu instid0(VALU_DEP_3) | instskip(NEXT) | instid1(VALU_DEP_2)
	v_mov_b32_e32 v8, v2
	v_mov_b32_e32 v4, v1
	;; [unrolled: 1-line block ×3, first 2 shown]
.LBB35_232:
	s_or_b32 exec_lo, exec_lo, s2
	s_delay_alu instid0(VALU_DEP_1) | instskip(NEXT) | instid1(VALU_DEP_2)
	v_mov_b32_e32 v3, v16
	v_mov_b32_e32 v1, v4
	v_mov_b32_e32 v2, v8
	s_or_b32 exec_lo, exec_lo, s1
	s_and_saveexec_b32 s0, vcc_lo
	s_cbranch_execz .LBB35_238
.LBB35_233:
	v_and_b32_e32 v4, 1, v3
	s_delay_alu instid0(VALU_DEP_1)
	v_cmp_eq_u32_e32 vcc_lo, 1, v4
	s_waitcnt vmcnt(0)
	v_mov_b32_e32 v4, v7
	s_and_saveexec_b32 s1, vcc_lo
	s_cbranch_execz .LBB35_237
; %bb.234:
	v_and_b32_e32 v4, 1, v5
	s_mov_b32 s2, exec_lo
	s_delay_alu instid0(VALU_DEP_1)
	v_cmpx_eq_u32_e32 1, v4
; %bb.235:
	v_cmp_lt_f32_e32 vcc_lo, v2, v7
	v_dual_mov_b32 v3, 1 :: v_dual_cndmask_b32 v2, v2, v7
	v_cmp_lt_f32_e32 vcc_lo, v7, v1
	v_cndmask_b32_e32 v1, v1, v7, vcc_lo
; %bb.236:
	s_or_b32 exec_lo, exec_lo, s2
	s_delay_alu instid0(VALU_DEP_1)
	v_dual_mov_b32 v7, v2 :: v_dual_mov_b32 v4, v1
	v_mov_b32_e32 v5, v3
.LBB35_237:
	s_or_b32 exec_lo, exec_lo, s1
	s_delay_alu instid0(VALU_DEP_1) | instskip(NEXT) | instid1(VALU_DEP_2)
	v_dual_mov_b32 v3, v5 :: v_dual_mov_b32 v2, v7
	v_mov_b32_e32 v1, v4
.LBB35_238:
	s_or_b32 exec_lo, exec_lo, s0
	v_mbcnt_lo_u32_b32 v4, -1, 0
	s_waitcnt vmcnt(0)
	v_and_b32_e32 v7, 0xffff, v3
	s_min_u32 s0, s34, 0x100
	s_delay_alu instid0(VALU_DEP_2) | instskip(SKIP_1) | instid1(VALU_DEP_1)
	v_cmp_ne_u32_e32 vcc_lo, 31, v4
	v_add_co_ci_u32_e32 v5, vcc_lo, 0, v4, vcc_lo
	v_lshlrev_b32_e32 v5, 2, v5
	ds_bpermute_b32 v10, v5, v7
	ds_bpermute_b32 v8, v5, v1
	;; [unrolled: 1-line block ×3, first 2 shown]
	v_and_b32_e32 v5, 0xe0, v0
	s_delay_alu instid0(VALU_DEP_1) | instskip(SKIP_1) | instid1(VALU_DEP_1)
	v_sub_nc_u32_e64 v6, s0, v5 clamp
	v_add_nc_u32_e32 v5, 1, v4
	v_cmp_lt_u32_e32 vcc_lo, v5, v6
	v_mov_b32_e32 v5, v7
	s_and_saveexec_b32 s1, vcc_lo
	s_delay_alu instid0(SALU_CYCLE_1)
	s_xor_b32 s1, exec_lo, s1
	s_cbranch_execz .LBB35_244
; %bb.239:
	v_and_b32_e32 v3, 1, v3
	s_mov_b32 s2, exec_lo
	s_delay_alu instid0(VALU_DEP_1)
	v_cmpx_eq_u32_e32 1, v3
	s_cbranch_execz .LBB35_243
; %bb.240:
	s_waitcnt lgkmcnt(2)
	v_and_b32_e32 v3, 1, v10
	s_mov_b32 s3, exec_lo
	s_delay_alu instid0(VALU_DEP_1)
	v_cmpx_eq_u32_e32 1, v3
	s_cbranch_execz .LBB35_242
; %bb.241:
	s_waitcnt lgkmcnt(1)
	v_cmp_gt_f32_e32 vcc_lo, v1, v8
	v_mov_b32_e32 v7, 1
	v_cndmask_b32_e32 v1, v1, v8, vcc_lo
	s_waitcnt lgkmcnt(0)
	v_cmp_lt_f32_e32 vcc_lo, v2, v9
	v_cndmask_b32_e32 v2, v2, v9, vcc_lo
.LBB35_242:
	s_or_b32 exec_lo, exec_lo, s3
	s_waitcnt lgkmcnt(0)
	s_delay_alu instid0(VALU_DEP_1)
	v_dual_mov_b32 v10, v7 :: v_dual_mov_b32 v9, v2
	v_mov_b32_e32 v8, v1
.LBB35_243:
	s_or_b32 exec_lo, exec_lo, s2
	s_waitcnt lgkmcnt(0)
	s_delay_alu instid0(VALU_DEP_2) | instskip(NEXT) | instid1(VALU_DEP_2)
	v_dual_mov_b32 v2, v9 :: v_dual_and_b32 v5, 0xff, v10
	v_mov_b32_e32 v1, v8
	v_mov_b32_e32 v7, v10
.LBB35_244:
	s_or_b32 exec_lo, exec_lo, s1
	v_cmp_gt_u32_e32 vcc_lo, 30, v4
	s_waitcnt lgkmcnt(2)
	v_add_nc_u32_e32 v10, 2, v4
	s_mov_b32 s1, exec_lo
	v_cndmask_b32_e64 v3, 0, 1, vcc_lo
	s_delay_alu instid0(VALU_DEP_1) | instskip(NEXT) | instid1(VALU_DEP_1)
	v_lshlrev_b32_e32 v3, 1, v3
	v_add_lshl_u32 v3, v3, v4, 2
	s_waitcnt lgkmcnt(0)
	ds_bpermute_b32 v9, v3, v5
	ds_bpermute_b32 v8, v3, v1
	ds_bpermute_b32 v3, v3, v2
	v_cmpx_lt_u32_e64 v10, v6
	s_cbranch_execz .LBB35_250
; %bb.245:
	v_and_b32_e32 v5, 1, v7
	s_mov_b32 s2, exec_lo
	s_delay_alu instid0(VALU_DEP_1)
	v_cmpx_eq_u32_e32 1, v5
	s_cbranch_execz .LBB35_249
; %bb.246:
	s_waitcnt lgkmcnt(2)
	v_and_b32_e32 v5, 1, v9
	s_mov_b32 s3, exec_lo
	s_delay_alu instid0(VALU_DEP_1)
	v_cmpx_eq_u32_e32 1, v5
	s_cbranch_execz .LBB35_248
; %bb.247:
	s_waitcnt lgkmcnt(1)
	v_cmp_gt_f32_e32 vcc_lo, v1, v8
	v_mov_b32_e32 v7, 1
	v_cndmask_b32_e32 v1, v1, v8, vcc_lo
	s_waitcnt lgkmcnt(0)
	v_cmp_lt_f32_e32 vcc_lo, v2, v3
	v_cndmask_b32_e32 v2, v2, v3, vcc_lo
.LBB35_248:
	s_or_b32 exec_lo, exec_lo, s3
	s_waitcnt lgkmcnt(1)
	v_dual_mov_b32 v9, v7 :: v_dual_mov_b32 v8, v1
	s_waitcnt lgkmcnt(0)
	v_mov_b32_e32 v3, v2
.LBB35_249:
	s_or_b32 exec_lo, exec_lo, s2
	s_waitcnt lgkmcnt(0)
	s_delay_alu instid0(VALU_DEP_1)
	v_dual_mov_b32 v2, v3 :: v_dual_and_b32 v5, 0xff, v9
	v_mov_b32_e32 v1, v8
	v_mov_b32_e32 v7, v9
.LBB35_250:
	s_or_b32 exec_lo, exec_lo, s1
	v_cmp_gt_u32_e32 vcc_lo, 28, v4
	v_add_nc_u32_e32 v10, 4, v4
	s_mov_b32 s1, exec_lo
	s_waitcnt lgkmcnt(0)
	v_cndmask_b32_e64 v3, 0, 1, vcc_lo
	s_delay_alu instid0(VALU_DEP_1) | instskip(NEXT) | instid1(VALU_DEP_1)
	v_lshlrev_b32_e32 v3, 2, v3
	v_add_lshl_u32 v3, v3, v4, 2
	ds_bpermute_b32 v9, v3, v5
	ds_bpermute_b32 v8, v3, v1
	ds_bpermute_b32 v3, v3, v2
	v_cmpx_lt_u32_e64 v10, v6
	s_cbranch_execz .LBB35_256
; %bb.251:
	v_and_b32_e32 v5, 1, v7
	s_mov_b32 s2, exec_lo
	s_delay_alu instid0(VALU_DEP_1)
	v_cmpx_eq_u32_e32 1, v5
	s_cbranch_execz .LBB35_255
; %bb.252:
	s_waitcnt lgkmcnt(2)
	v_and_b32_e32 v5, 1, v9
	s_mov_b32 s3, exec_lo
	s_delay_alu instid0(VALU_DEP_1)
	v_cmpx_eq_u32_e32 1, v5
	s_cbranch_execz .LBB35_254
; %bb.253:
	s_waitcnt lgkmcnt(1)
	v_cmp_gt_f32_e32 vcc_lo, v1, v8
	v_mov_b32_e32 v7, 1
	v_cndmask_b32_e32 v1, v1, v8, vcc_lo
	s_waitcnt lgkmcnt(0)
	v_cmp_lt_f32_e32 vcc_lo, v2, v3
	v_cndmask_b32_e32 v2, v2, v3, vcc_lo
.LBB35_254:
	s_or_b32 exec_lo, exec_lo, s3
	s_waitcnt lgkmcnt(1)
	v_dual_mov_b32 v9, v7 :: v_dual_mov_b32 v8, v1
	s_waitcnt lgkmcnt(0)
	v_mov_b32_e32 v3, v2
.LBB35_255:
	s_or_b32 exec_lo, exec_lo, s2
	s_waitcnt lgkmcnt(0)
	s_delay_alu instid0(VALU_DEP_1)
	v_dual_mov_b32 v2, v3 :: v_dual_and_b32 v5, 0xff, v9
	v_mov_b32_e32 v1, v8
	v_mov_b32_e32 v7, v9
.LBB35_256:
	s_or_b32 exec_lo, exec_lo, s1
	v_cmp_gt_u32_e32 vcc_lo, 24, v4
	v_add_nc_u32_e32 v10, 8, v4
	s_mov_b32 s1, exec_lo
	s_waitcnt lgkmcnt(0)
	v_cndmask_b32_e64 v3, 0, 1, vcc_lo
	s_delay_alu instid0(VALU_DEP_1) | instskip(NEXT) | instid1(VALU_DEP_1)
	v_lshlrev_b32_e32 v3, 3, v3
	v_add_lshl_u32 v3, v3, v4, 2
	;; [unrolled: 49-line block ×3, first 2 shown]
	ds_bpermute_b32 v9, v8, v5
	ds_bpermute_b32 v3, v8, v1
	ds_bpermute_b32 v8, v8, v2
	v_cmpx_lt_u32_e64 v10, v6
	s_cbranch_execz .LBB35_268
; %bb.263:
	v_and_b32_e32 v5, 1, v7
	s_mov_b32 s2, exec_lo
	s_delay_alu instid0(VALU_DEP_1)
	v_cmpx_eq_u32_e32 1, v5
	s_cbranch_execz .LBB35_267
; %bb.264:
	s_waitcnt lgkmcnt(2)
	v_and_b32_e32 v5, 1, v9
	s_mov_b32 s3, exec_lo
	s_delay_alu instid0(VALU_DEP_1)
	v_cmpx_eq_u32_e32 1, v5
	s_cbranch_execz .LBB35_266
; %bb.265:
	s_waitcnt lgkmcnt(1)
	v_cmp_gt_f32_e32 vcc_lo, v1, v3
	v_mov_b32_e32 v7, 1
	v_cndmask_b32_e32 v1, v1, v3, vcc_lo
	s_waitcnt lgkmcnt(0)
	v_cmp_lt_f32_e32 vcc_lo, v2, v8
	v_cndmask_b32_e32 v2, v2, v8, vcc_lo
.LBB35_266:
	s_or_b32 exec_lo, exec_lo, s3
	s_waitcnt lgkmcnt(0)
	s_delay_alu instid0(VALU_DEP_1)
	v_dual_mov_b32 v9, v7 :: v_dual_mov_b32 v8, v2
	v_mov_b32_e32 v3, v1
.LBB35_267:
	s_or_b32 exec_lo, exec_lo, s2
	s_waitcnt lgkmcnt(0)
	s_delay_alu instid0(VALU_DEP_2)
	v_dual_mov_b32 v2, v8 :: v_dual_and_b32 v5, 0xff, v9
	v_mov_b32_e32 v7, v9
	v_mov_b32_e32 v1, v3
.LBB35_268:
	s_or_b32 exec_lo, exec_lo, s1
	s_delay_alu instid0(SALU_CYCLE_1)
	s_mov_b32 s1, exec_lo
	v_cmpx_eq_u32_e32 0, v4
	s_cbranch_execz .LBB35_270
; %bb.269:
	s_waitcnt lgkmcnt(1)
	v_lshrrev_b32_e32 v3, 5, v0
	s_delay_alu instid0(VALU_DEP_1)
	v_mul_u32_u24_e32 v3, 12, v3
	ds_store_b8 v3, v7
	ds_store_2addr_b32 v3, v1, v2 offset0:1 offset1:2
.LBB35_270:
	s_or_b32 exec_lo, exec_lo, s1
	s_delay_alu instid0(SALU_CYCLE_1)
	s_mov_b32 s1, exec_lo
	s_waitcnt lgkmcnt(0)
	s_barrier
	buffer_gl0_inv
	v_cmpx_gt_u32_e32 8, v0
	s_cbranch_execz .LBB35_290
; %bb.271:
	v_mul_u32_u24_e32 v1, 12, v4
	s_add_i32 s0, s0, 31
	ds_load_u8 v3, v1
	ds_load_2addr_b32 v[1:2], v1 offset0:1 offset1:2
	v_and_b32_e32 v6, 7, v4
	s_lshr_b32 s0, s0, 5
	s_delay_alu instid0(VALU_DEP_1) | instskip(SKIP_1) | instid1(VALU_DEP_1)
	v_cmp_ne_u32_e32 vcc_lo, 7, v6
	v_add_co_ci_u32_e32 v5, vcc_lo, 0, v4, vcc_lo
	v_lshlrev_b32_e32 v7, 2, v5
	s_waitcnt lgkmcnt(0)
	v_dual_mov_b32 v8, v2 :: v_dual_and_b32 v5, 0xff, v3
	ds_bpermute_b32 v9, v7, v1
	ds_bpermute_b32 v10, v7, v2
	;; [unrolled: 1-line block ×3, first 2 shown]
	v_add_nc_u32_e32 v7, 1, v6
	s_delay_alu instid0(VALU_DEP_1)
	v_cmp_gt_u32_e32 vcc_lo, s0, v7
	v_mov_b32_e32 v7, v1
	s_and_saveexec_b32 s2, vcc_lo
	s_cbranch_execz .LBB35_277
; %bb.272:
	v_and_b32_e32 v5, 1, v3
	s_mov_b32 s3, exec_lo
	s_delay_alu instid0(VALU_DEP_1)
	v_cmpx_eq_u32_e32 1, v5
	s_cbranch_execz .LBB35_276
; %bb.273:
	s_waitcnt lgkmcnt(0)
	v_and_b32_e32 v5, 1, v11
	s_mov_b32 s4, exec_lo
	s_delay_alu instid0(VALU_DEP_1)
	v_cmpx_eq_u32_e32 1, v5
; %bb.274:
	v_cmp_gt_f32_e32 vcc_lo, v1, v9
	v_mov_b32_e32 v3, 1
	v_cndmask_b32_e32 v1, v1, v9, vcc_lo
	v_cmp_lt_f32_e32 vcc_lo, v2, v10
	v_cndmask_b32_e32 v2, v2, v10, vcc_lo
; %bb.275:
	s_or_b32 exec_lo, exec_lo, s4
	s_delay_alu instid0(VALU_DEP_1)
	v_dual_mov_b32 v11, v3 :: v_dual_mov_b32 v10, v2
	v_mov_b32_e32 v9, v1
.LBB35_276:
	s_or_b32 exec_lo, exec_lo, s3
	s_waitcnt lgkmcnt(0)
	s_delay_alu instid0(VALU_DEP_2) | instskip(NEXT) | instid1(VALU_DEP_2)
	v_dual_mov_b32 v8, v10 :: v_dual_and_b32 v5, 0xff, v11
	v_dual_mov_b32 v7, v9 :: v_dual_mov_b32 v2, v10
	v_mov_b32_e32 v3, v11
	v_mov_b32_e32 v1, v9
.LBB35_277:
	s_or_b32 exec_lo, exec_lo, s2
	v_cmp_gt_u32_e32 vcc_lo, 6, v6
	v_add_nc_u32_e32 v12, 2, v6
	s_mov_b32 s2, exec_lo
	s_waitcnt lgkmcnt(2)
	v_cndmask_b32_e64 v9, 0, 1, vcc_lo
	s_delay_alu instid0(VALU_DEP_1) | instskip(SKIP_1) | instid1(VALU_DEP_1)
	v_lshlrev_b32_e32 v9, 1, v9
	s_waitcnt lgkmcnt(1)
	v_add_lshl_u32 v10, v9, v4, 2
	s_waitcnt lgkmcnt(0)
	ds_bpermute_b32 v11, v10, v5
	ds_bpermute_b32 v9, v10, v7
	;; [unrolled: 1-line block ×3, first 2 shown]
	v_cmpx_gt_u32_e64 s0, v12
	s_cbranch_execz .LBB35_283
; %bb.278:
	v_and_b32_e32 v5, 1, v3
	s_mov_b32 s3, exec_lo
	s_delay_alu instid0(VALU_DEP_1)
	v_cmpx_eq_u32_e32 1, v5
	s_cbranch_execz .LBB35_282
; %bb.279:
	s_waitcnt lgkmcnt(2)
	v_and_b32_e32 v5, 1, v11
	s_mov_b32 s4, exec_lo
	s_delay_alu instid0(VALU_DEP_1)
	v_cmpx_eq_u32_e32 1, v5
	s_cbranch_execz .LBB35_281
; %bb.280:
	s_waitcnt lgkmcnt(1)
	v_cmp_gt_f32_e32 vcc_lo, v1, v9
	v_mov_b32_e32 v3, 1
	v_cndmask_b32_e32 v1, v1, v9, vcc_lo
	s_waitcnt lgkmcnt(0)
	v_cmp_lt_f32_e32 vcc_lo, v2, v10
	v_cndmask_b32_e32 v2, v2, v10, vcc_lo
.LBB35_281:
	s_or_b32 exec_lo, exec_lo, s4
	s_waitcnt lgkmcnt(0)
	s_delay_alu instid0(VALU_DEP_1)
	v_dual_mov_b32 v11, v3 :: v_dual_mov_b32 v10, v2
	v_mov_b32_e32 v9, v1
.LBB35_282:
	s_or_b32 exec_lo, exec_lo, s3
	s_waitcnt lgkmcnt(0)
	s_delay_alu instid0(VALU_DEP_2) | instskip(NEXT) | instid1(VALU_DEP_2)
	v_dual_mov_b32 v8, v10 :: v_dual_and_b32 v5, 0xff, v11
	v_dual_mov_b32 v7, v9 :: v_dual_mov_b32 v2, v10
	v_mov_b32_e32 v3, v11
	v_mov_b32_e32 v1, v9
.LBB35_283:
	s_or_b32 exec_lo, exec_lo, s2
	v_cmp_gt_u32_e32 vcc_lo, 4, v6
	v_add_nc_u32_e32 v6, 4, v6
	s_waitcnt lgkmcnt(1)
	v_cndmask_b32_e64 v9, 0, 1, vcc_lo
	s_delay_alu instid0(VALU_DEP_2) | instskip(NEXT) | instid1(VALU_DEP_2)
	v_cmp_gt_u32_e32 vcc_lo, s0, v6
	v_lshlrev_b32_e32 v9, 2, v9
	s_waitcnt lgkmcnt(0)
	s_delay_alu instid0(VALU_DEP_1)
	v_add_lshl_u32 v10, v9, v4, 2
	ds_bpermute_b32 v9, v10, v5
	ds_bpermute_b32 v4, v10, v7
	;; [unrolled: 1-line block ×3, first 2 shown]
	s_and_saveexec_b32 s0, vcc_lo
	s_cbranch_execz .LBB35_289
; %bb.284:
	v_and_b32_e32 v5, 1, v3
	s_mov_b32 s2, exec_lo
	s_delay_alu instid0(VALU_DEP_1)
	v_cmpx_eq_u32_e32 1, v5
	s_cbranch_execz .LBB35_288
; %bb.285:
	s_waitcnt lgkmcnt(2)
	v_and_b32_e32 v5, 1, v9
	s_mov_b32 s3, exec_lo
	s_delay_alu instid0(VALU_DEP_1)
	v_cmpx_eq_u32_e32 1, v5
	s_cbranch_execz .LBB35_287
; %bb.286:
	s_waitcnt lgkmcnt(1)
	v_cmp_gt_f32_e32 vcc_lo, v1, v4
	v_mov_b32_e32 v3, 1
	v_cndmask_b32_e32 v1, v1, v4, vcc_lo
	s_waitcnt lgkmcnt(0)
	v_cmp_lt_f32_e32 vcc_lo, v2, v7
	v_cndmask_b32_e32 v2, v2, v7, vcc_lo
.LBB35_287:
	s_or_b32 exec_lo, exec_lo, s3
	s_waitcnt lgkmcnt(1)
	v_dual_mov_b32 v9, v3 :: v_dual_mov_b32 v4, v1
	s_waitcnt lgkmcnt(0)
	v_mov_b32_e32 v7, v2
.LBB35_288:
	s_or_b32 exec_lo, exec_lo, s2
	s_waitcnt lgkmcnt(0)
	s_delay_alu instid0(VALU_DEP_1)
	v_dual_mov_b32 v2, v7 :: v_dual_and_b32 v5, 0xff, v9
	v_mov_b32_e32 v1, v4
.LBB35_289:
	s_or_b32 exec_lo, exec_lo, s0
.LBB35_290:
	s_delay_alu instid0(SALU_CYCLE_1)
	s_or_b32 exec_lo, exec_lo, s1
.LBB35_291:
	s_mov_b32 s10, 0
                                        ; implicit-def: $vgpr4
                                        ; implicit-def: $vgpr6
	s_mov_b32 s0, exec_lo
	v_cmpx_eq_u32_e32 0, v0
	s_xor_b32 s2, exec_lo, s0
	s_cbranch_execz .LBB35_297
; %bb.292:
	s_waitcnt lgkmcnt(1)
	v_dual_mov_b32 v4, s27 :: v_dual_mov_b32 v3, s26
	v_mov_b32_e32 v6, s30
	s_cmp_eq_u64 s[20:21], 0
	s_cbranch_scc1 .LBB35_296
; %bb.293:
	s_bitcmp0_b32 s30, 0
	s_cbranch_scc1 .LBB35_295
; %bb.294:
	v_and_b32_e32 v3, 1, v5
	v_cmp_gt_f32_e32 vcc_lo, s26, v1
	s_waitcnt lgkmcnt(0)
	v_cmp_lt_f32_e64 s1, s27, v2
	s_delay_alu instid0(VALU_DEP_3) | instskip(NEXT) | instid1(VALU_DEP_1)
	v_cmp_eq_u32_e64 s0, 1, v3
	s_and_b32 vcc_lo, s0, vcc_lo
	v_cndmask_b32_e64 v5, s30, 1, s0
	v_cndmask_b32_e32 v1, s26, v1, vcc_lo
	s_and_b32 vcc_lo, s0, s1
	v_cndmask_b32_e32 v2, s27, v2, vcc_lo
.LBB35_295:
	s_waitcnt lgkmcnt(0)
	s_delay_alu instid0(VALU_DEP_1)
	v_dual_mov_b32 v4, v2 :: v_dual_mov_b32 v3, v1
	v_mov_b32_e32 v6, v5
.LBB35_296:
	s_mov_b32 s10, exec_lo
.LBB35_297:
	s_or_b32 exec_lo, exec_lo, s2
	s_delay_alu instid0(SALU_CYCLE_1)
	s_and_b32 vcc_lo, exec_lo, s31
	s_cbranch_vccnz .LBB35_48
.LBB35_298:
	s_branch .LBB35_437
.LBB35_299:
	v_lshlrev_b32_e32 v6, 2, v2
	v_add_nc_u32_e32 v2, s9, v2
	global_load_b32 v8, v6, s[6:7]
	s_abs_i32 s7, s19
	v_sub_nc_u32_e32 v19, 0, v2
	v_cvt_f32_u32_e32 v6, s7
	s_sub_i32 s6, 0, s7
	s_delay_alu instid0(VALU_DEP_2) | instskip(NEXT) | instid1(VALU_DEP_2)
	v_max_i32_e32 v19, v2, v19
	v_rcp_iflag_f32_e32 v6, v6
	v_ashrrev_i32_e32 v2, 31, v2
	s_waitcnt_depctr 0xfff
	v_mul_f32_e32 v6, 0x4f7ffffe, v6
	s_delay_alu instid0(VALU_DEP_1) | instskip(NEXT) | instid1(VALU_DEP_1)
	v_cvt_u32_f32_e32 v6, v6
	v_mul_lo_u32 v18, s6, v6
	s_delay_alu instid0(VALU_DEP_1) | instskip(NEXT) | instid1(VALU_DEP_1)
	v_mul_hi_u32 v18, v6, v18
	v_add_nc_u32_e32 v6, v6, v18
	s_delay_alu instid0(VALU_DEP_1) | instskip(NEXT) | instid1(VALU_DEP_1)
	v_mul_hi_u32 v6, v19, v6
	v_mul_lo_u32 v6, v6, s7
	s_delay_alu instid0(VALU_DEP_1) | instskip(NEXT) | instid1(VALU_DEP_1)
	v_sub_nc_u32_e32 v6, v19, v6
	v_subrev_nc_u32_e32 v18, s7, v6
	v_cmp_le_u32_e64 s6, s7, v6
	s_delay_alu instid0(VALU_DEP_1) | instskip(NEXT) | instid1(VALU_DEP_1)
	v_cndmask_b32_e64 v6, v6, v18, s6
	v_subrev_nc_u32_e32 v18, s7, v6
	v_cmp_le_u32_e64 s6, s7, v6
	s_delay_alu instid0(VALU_DEP_1) | instskip(NEXT) | instid1(VALU_DEP_1)
	v_cndmask_b32_e64 v6, v6, v18, s6
	v_xor_b32_e32 v6, v6, v2
	s_delay_alu instid0(VALU_DEP_1) | instskip(NEXT) | instid1(VALU_DEP_1)
	v_sub_nc_u32_e32 v2, v6, v2
	v_cmp_gt_i32_e64 s6, s18, v2
	s_delay_alu instid0(VALU_DEP_1)
	v_cndmask_b32_e64 v6, 0, 1, s6
	s_or_b32 exec_lo, exec_lo, s11
	s_waitcnt vmcnt(1)
	v_mov_b32_e32 v2, v1
	s_and_saveexec_b32 s6, s5
	s_cbranch_execz .LBB35_156
.LBB35_300:
	v_and_b32_e32 v2, 1, v3
	s_delay_alu instid0(VALU_DEP_1) | instskip(SKIP_1) | instid1(VALU_DEP_2)
	v_cmp_eq_u32_e64 s5, 1, v2
	v_mov_b32_e32 v2, v7
	s_and_saveexec_b32 s7, s5
	s_cbranch_execz .LBB35_304
; %bb.301:
	v_and_b32_e32 v2, 1, v17
	s_delay_alu instid0(VALU_DEP_1) | instskip(SKIP_1) | instid1(VALU_DEP_2)
	v_cmp_eq_u32_e64 s5, 1, v2
	v_mov_b32_e32 v2, v1
	s_and_saveexec_b32 s9, s5
; %bb.302:
	v_cmp_lt_f32_e64 s5, v1, v7
	v_mov_b32_e32 v3, 1
	s_delay_alu instid0(VALU_DEP_2) | instskip(SKIP_1) | instid1(VALU_DEP_1)
	v_cndmask_b32_e64 v17, v1, v7, s5
	v_cmp_lt_f32_e64 s5, v7, v1
	v_cndmask_b32_e64 v2, v1, v7, s5
	s_delay_alu instid0(VALU_DEP_3)
	v_mov_b32_e32 v1, v17
; %bb.303:
	s_or_b32 exec_lo, exec_lo, s9
	s_delay_alu instid0(VALU_DEP_1)
	v_mov_b32_e32 v7, v1
	v_mov_b32_e32 v17, v3
.LBB35_304:
	s_or_b32 exec_lo, exec_lo, s7
	s_delay_alu instid0(VALU_DEP_1) | instskip(NEXT) | instid1(VALU_DEP_3)
	v_mov_b32_e32 v3, v17
	v_dual_mov_b32 v1, v2 :: v_dual_mov_b32 v2, v7
	s_or_b32 exec_lo, exec_lo, s6
	s_and_saveexec_b32 s5, s4
	s_cbranch_execz .LBB35_157
.LBB35_305:
	v_and_b32_e32 v7, 1, v3
	s_delay_alu instid0(VALU_DEP_1) | instskip(SKIP_1) | instid1(VALU_DEP_2)
	v_cmp_eq_u32_e64 s4, 1, v7
	v_mov_b32_e32 v7, v11
	s_and_saveexec_b32 s6, s4
	s_cbranch_execz .LBB35_309
; %bb.306:
	v_and_b32_e32 v7, 1, v16
	s_mov_b32 s7, exec_lo
	s_delay_alu instid0(VALU_DEP_1)
	v_cmpx_eq_u32_e32 1, v7
; %bb.307:
	v_cmp_lt_f32_e64 s4, v2, v11
	v_mov_b32_e32 v3, 1
	s_delay_alu instid0(VALU_DEP_2) | instskip(SKIP_1) | instid1(VALU_DEP_1)
	v_cndmask_b32_e64 v2, v2, v11, s4
	v_cmp_lt_f32_e64 s4, v11, v1
	v_cndmask_b32_e64 v1, v1, v11, s4
; %bb.308:
	s_or_b32 exec_lo, exec_lo, s7
	s_delay_alu instid0(VALU_DEP_3) | instskip(NEXT) | instid1(VALU_DEP_2)
	v_dual_mov_b32 v11, v2 :: v_dual_mov_b32 v16, v3
	v_mov_b32_e32 v7, v1
.LBB35_309:
	s_or_b32 exec_lo, exec_lo, s6
	s_delay_alu instid0(VALU_DEP_2) | instskip(NEXT) | instid1(VALU_DEP_2)
	v_dual_mov_b32 v3, v16 :: v_dual_mov_b32 v2, v11
	v_mov_b32_e32 v1, v7
	s_or_b32 exec_lo, exec_lo, s5
	s_and_saveexec_b32 s4, s3
	s_cbranch_execz .LBB35_158
.LBB35_310:
	v_and_b32_e32 v7, 1, v3
	s_delay_alu instid0(VALU_DEP_1) | instskip(SKIP_1) | instid1(VALU_DEP_2)
	v_cmp_eq_u32_e64 s3, 1, v7
	v_mov_b32_e32 v7, v5
	s_and_saveexec_b32 s5, s3
	s_cbranch_execz .LBB35_314
; %bb.311:
	v_and_b32_e32 v7, 1, v15
	s_mov_b32 s6, exec_lo
	s_delay_alu instid0(VALU_DEP_1)
	v_cmpx_eq_u32_e32 1, v7
; %bb.312:
	v_cmp_lt_f32_e64 s3, v2, v5
	v_mov_b32_e32 v3, 1
	s_delay_alu instid0(VALU_DEP_2) | instskip(SKIP_1) | instid1(VALU_DEP_1)
	v_cndmask_b32_e64 v2, v2, v5, s3
	v_cmp_lt_f32_e64 s3, v5, v1
	v_cndmask_b32_e64 v1, v1, v5, s3
; %bb.313:
	s_or_b32 exec_lo, exec_lo, s6
	s_delay_alu instid0(VALU_DEP_3) | instskip(NEXT) | instid1(VALU_DEP_2)
	v_mov_b32_e32 v5, v2
	v_mov_b32_e32 v7, v1
	;; [unrolled: 1-line block ×3, first 2 shown]
.LBB35_314:
	s_or_b32 exec_lo, exec_lo, s5
	s_delay_alu instid0(VALU_DEP_1) | instskip(NEXT) | instid1(VALU_DEP_2)
	v_dual_mov_b32 v3, v15 :: v_dual_mov_b32 v2, v5
	v_mov_b32_e32 v1, v7
	s_or_b32 exec_lo, exec_lo, s4
	s_and_saveexec_b32 s3, s2
	s_cbranch_execz .LBB35_159
.LBB35_315:
	v_and_b32_e32 v5, 1, v3
	s_delay_alu instid0(VALU_DEP_1) | instskip(SKIP_1) | instid1(VALU_DEP_2)
	v_cmp_eq_u32_e64 s2, 1, v5
	v_mov_b32_e32 v5, v10
	s_and_saveexec_b32 s4, s2
	s_cbranch_execz .LBB35_319
; %bb.316:
	v_and_b32_e32 v5, 1, v14
	s_mov_b32 s5, exec_lo
	s_delay_alu instid0(VALU_DEP_1)
	v_cmpx_eq_u32_e32 1, v5
; %bb.317:
	v_cmp_lt_f32_e64 s2, v2, v10
	v_mov_b32_e32 v3, 1
	s_delay_alu instid0(VALU_DEP_2) | instskip(SKIP_1) | instid1(VALU_DEP_1)
	v_cndmask_b32_e64 v2, v2, v10, s2
	v_cmp_lt_f32_e64 s2, v10, v1
	v_cndmask_b32_e64 v1, v1, v10, s2
; %bb.318:
	s_or_b32 exec_lo, exec_lo, s5
	s_delay_alu instid0(VALU_DEP_1)
	v_dual_mov_b32 v10, v2 :: v_dual_mov_b32 v5, v1
	v_mov_b32_e32 v14, v3
.LBB35_319:
	s_or_b32 exec_lo, exec_lo, s4
	s_delay_alu instid0(VALU_DEP_1) | instskip(NEXT) | instid1(VALU_DEP_2)
	v_mov_b32_e32 v3, v14
	v_dual_mov_b32 v1, v5 :: v_dual_mov_b32 v2, v10
	s_or_b32 exec_lo, exec_lo, s3
	s_and_saveexec_b32 s2, s1
	s_cbranch_execz .LBB35_160
.LBB35_320:
	v_and_b32_e32 v5, 1, v3
	s_delay_alu instid0(VALU_DEP_1) | instskip(SKIP_1) | instid1(VALU_DEP_2)
	v_cmp_eq_u32_e64 s1, 1, v5
	v_mov_b32_e32 v5, v4
	s_and_saveexec_b32 s3, s1
	s_cbranch_execz .LBB35_324
; %bb.321:
	v_and_b32_e32 v5, 1, v13
	s_mov_b32 s4, exec_lo
	s_delay_alu instid0(VALU_DEP_1)
	v_cmpx_eq_u32_e32 1, v5
; %bb.322:
	v_cmp_lt_f32_e64 s1, v2, v4
	v_mov_b32_e32 v3, 1
	s_delay_alu instid0(VALU_DEP_2) | instskip(SKIP_1) | instid1(VALU_DEP_1)
	v_cndmask_b32_e64 v2, v2, v4, s1
	v_cmp_lt_f32_e64 s1, v4, v1
	v_cndmask_b32_e64 v1, v1, v4, s1
; %bb.323:
	s_or_b32 exec_lo, exec_lo, s4
	s_delay_alu instid0(VALU_DEP_1)
	v_dual_mov_b32 v4, v2 :: v_dual_mov_b32 v5, v1
	v_mov_b32_e32 v13, v3
.LBB35_324:
	s_or_b32 exec_lo, exec_lo, s3
	s_delay_alu instid0(VALU_DEP_1) | instskip(NEXT) | instid1(VALU_DEP_2)
	v_dual_mov_b32 v3, v13 :: v_dual_mov_b32 v2, v4
	v_mov_b32_e32 v1, v5
	s_or_b32 exec_lo, exec_lo, s2
	s_and_saveexec_b32 s1, s0
	s_cbranch_execz .LBB35_161
.LBB35_325:
	v_and_b32_e32 v4, 1, v3
	s_delay_alu instid0(VALU_DEP_1) | instskip(SKIP_1) | instid1(VALU_DEP_2)
	v_cmp_eq_u32_e64 s0, 1, v4
	v_mov_b32_e32 v4, v9
	s_and_saveexec_b32 s2, s0
	s_cbranch_execz .LBB35_329
; %bb.326:
	v_and_b32_e32 v4, 1, v12
	s_mov_b32 s3, exec_lo
	s_delay_alu instid0(VALU_DEP_1)
	v_cmpx_eq_u32_e32 1, v4
; %bb.327:
	v_cmp_lt_f32_e64 s0, v2, v9
	v_mov_b32_e32 v3, 1
	s_delay_alu instid0(VALU_DEP_2) | instskip(SKIP_1) | instid1(VALU_DEP_1)
	v_cndmask_b32_e64 v2, v2, v9, s0
	v_cmp_lt_f32_e64 s0, v9, v1
	v_cndmask_b32_e64 v1, v1, v9, s0
; %bb.328:
	s_or_b32 exec_lo, exec_lo, s3
	s_delay_alu instid0(VALU_DEP_1)
	v_dual_mov_b32 v9, v2 :: v_dual_mov_b32 v4, v1
	v_mov_b32_e32 v12, v3
.LBB35_329:
	s_or_b32 exec_lo, exec_lo, s2
	s_delay_alu instid0(VALU_DEP_1) | instskip(NEXT) | instid1(VALU_DEP_2)
	v_dual_mov_b32 v3, v12 :: v_dual_mov_b32 v2, v9
	v_mov_b32_e32 v1, v4
	s_or_b32 exec_lo, exec_lo, s1
	s_and_saveexec_b32 s0, vcc_lo
	s_cbranch_execz .LBB35_335
.LBB35_330:
	v_and_b32_e32 v4, 1, v3
	s_delay_alu instid0(VALU_DEP_1)
	v_cmp_eq_u32_e32 vcc_lo, 1, v4
	s_waitcnt vmcnt(0)
	v_mov_b32_e32 v4, v8
	s_and_saveexec_b32 s1, vcc_lo
	s_cbranch_execz .LBB35_334
; %bb.331:
	v_and_b32_e32 v4, 1, v6
	s_mov_b32 s2, exec_lo
	s_delay_alu instid0(VALU_DEP_1)
	v_cmpx_eq_u32_e32 1, v4
; %bb.332:
	v_cmp_lt_f32_e32 vcc_lo, v2, v8
	v_dual_mov_b32 v3, 1 :: v_dual_cndmask_b32 v2, v2, v8
	v_cmp_lt_f32_e32 vcc_lo, v8, v1
	v_cndmask_b32_e32 v1, v1, v8, vcc_lo
; %bb.333:
	s_or_b32 exec_lo, exec_lo, s2
	s_delay_alu instid0(VALU_DEP_3) | instskip(NEXT) | instid1(VALU_DEP_2)
	v_mov_b32_e32 v8, v2
	v_mov_b32_e32 v4, v1
	;; [unrolled: 1-line block ×3, first 2 shown]
.LBB35_334:
	s_or_b32 exec_lo, exec_lo, s1
	s_delay_alu instid0(VALU_DEP_1) | instskip(NEXT) | instid1(VALU_DEP_2)
	v_dual_mov_b32 v3, v6 :: v_dual_mov_b32 v2, v8
	v_mov_b32_e32 v1, v4
.LBB35_335:
	s_or_b32 exec_lo, exec_lo, s0
	v_mbcnt_lo_u32_b32 v4, -1, 0
	s_delay_alu instid0(VALU_DEP_3) | instskip(SKIP_1) | instid1(VALU_DEP_2)
	v_and_b32_e32 v7, 0xffff, v3
	s_min_u32 s0, s8, 0x100
	v_cmp_ne_u32_e32 vcc_lo, 31, v4
	v_add_co_ci_u32_e32 v5, vcc_lo, 0, v4, vcc_lo
	s_delay_alu instid0(VALU_DEP_1)
	v_lshlrev_b32_e32 v5, 2, v5
	ds_bpermute_b32 v10, v5, v7
	s_waitcnt vmcnt(0)
	ds_bpermute_b32 v8, v5, v1
	ds_bpermute_b32 v9, v5, v2
	v_and_b32_e32 v5, 0xe0, v0
	s_delay_alu instid0(VALU_DEP_1) | instskip(SKIP_1) | instid1(VALU_DEP_1)
	v_sub_nc_u32_e64 v6, s0, v5 clamp
	v_add_nc_u32_e32 v5, 1, v4
	v_cmp_lt_u32_e32 vcc_lo, v5, v6
	v_mov_b32_e32 v5, v7
	s_and_saveexec_b32 s1, vcc_lo
	s_delay_alu instid0(SALU_CYCLE_1)
	s_xor_b32 s1, exec_lo, s1
	s_cbranch_execz .LBB35_341
; %bb.336:
	v_and_b32_e32 v3, 1, v3
	s_mov_b32 s2, exec_lo
	s_delay_alu instid0(VALU_DEP_1)
	v_cmpx_eq_u32_e32 1, v3
	s_cbranch_execz .LBB35_340
; %bb.337:
	s_waitcnt lgkmcnt(2)
	v_and_b32_e32 v3, 1, v10
	s_mov_b32 s3, exec_lo
	s_delay_alu instid0(VALU_DEP_1)
	v_cmpx_eq_u32_e32 1, v3
	s_cbranch_execz .LBB35_339
; %bb.338:
	s_waitcnt lgkmcnt(1)
	v_cmp_gt_f32_e32 vcc_lo, v1, v8
	v_mov_b32_e32 v7, 1
	v_cndmask_b32_e32 v1, v1, v8, vcc_lo
	s_waitcnt lgkmcnt(0)
	v_cmp_lt_f32_e32 vcc_lo, v2, v9
	v_cndmask_b32_e32 v2, v2, v9, vcc_lo
.LBB35_339:
	s_or_b32 exec_lo, exec_lo, s3
	s_waitcnt lgkmcnt(0)
	s_delay_alu instid0(VALU_DEP_1)
	v_dual_mov_b32 v10, v7 :: v_dual_mov_b32 v9, v2
	v_mov_b32_e32 v8, v1
.LBB35_340:
	s_or_b32 exec_lo, exec_lo, s2
	s_waitcnt lgkmcnt(0)
	s_delay_alu instid0(VALU_DEP_2) | instskip(NEXT) | instid1(VALU_DEP_2)
	v_dual_mov_b32 v2, v9 :: v_dual_and_b32 v5, 0xff, v10
	v_mov_b32_e32 v1, v8
	v_mov_b32_e32 v7, v10
.LBB35_341:
	s_or_b32 exec_lo, exec_lo, s1
	v_cmp_gt_u32_e32 vcc_lo, 30, v4
	s_waitcnt lgkmcnt(2)
	v_add_nc_u32_e32 v10, 2, v4
	s_mov_b32 s1, exec_lo
	v_cndmask_b32_e64 v3, 0, 1, vcc_lo
	s_delay_alu instid0(VALU_DEP_1) | instskip(NEXT) | instid1(VALU_DEP_1)
	v_lshlrev_b32_e32 v3, 1, v3
	v_add_lshl_u32 v3, v3, v4, 2
	s_waitcnt lgkmcnt(0)
	ds_bpermute_b32 v9, v3, v5
	ds_bpermute_b32 v8, v3, v1
	ds_bpermute_b32 v3, v3, v2
	v_cmpx_lt_u32_e64 v10, v6
	s_cbranch_execz .LBB35_347
; %bb.342:
	v_and_b32_e32 v5, 1, v7
	s_mov_b32 s2, exec_lo
	s_delay_alu instid0(VALU_DEP_1)
	v_cmpx_eq_u32_e32 1, v5
	s_cbranch_execz .LBB35_346
; %bb.343:
	s_waitcnt lgkmcnt(2)
	v_and_b32_e32 v5, 1, v9
	s_mov_b32 s3, exec_lo
	s_delay_alu instid0(VALU_DEP_1)
	v_cmpx_eq_u32_e32 1, v5
	s_cbranch_execz .LBB35_345
; %bb.344:
	s_waitcnt lgkmcnt(1)
	v_cmp_gt_f32_e32 vcc_lo, v1, v8
	v_mov_b32_e32 v7, 1
	v_cndmask_b32_e32 v1, v1, v8, vcc_lo
	s_waitcnt lgkmcnt(0)
	v_cmp_lt_f32_e32 vcc_lo, v2, v3
	v_cndmask_b32_e32 v2, v2, v3, vcc_lo
.LBB35_345:
	s_or_b32 exec_lo, exec_lo, s3
	s_waitcnt lgkmcnt(1)
	v_dual_mov_b32 v9, v7 :: v_dual_mov_b32 v8, v1
	s_waitcnt lgkmcnt(0)
	v_mov_b32_e32 v3, v2
.LBB35_346:
	s_or_b32 exec_lo, exec_lo, s2
	s_waitcnt lgkmcnt(0)
	s_delay_alu instid0(VALU_DEP_1)
	v_dual_mov_b32 v2, v3 :: v_dual_and_b32 v5, 0xff, v9
	v_mov_b32_e32 v1, v8
	v_mov_b32_e32 v7, v9
.LBB35_347:
	s_or_b32 exec_lo, exec_lo, s1
	v_cmp_gt_u32_e32 vcc_lo, 28, v4
	v_add_nc_u32_e32 v10, 4, v4
	s_mov_b32 s1, exec_lo
	s_waitcnt lgkmcnt(0)
	v_cndmask_b32_e64 v3, 0, 1, vcc_lo
	s_delay_alu instid0(VALU_DEP_1) | instskip(NEXT) | instid1(VALU_DEP_1)
	v_lshlrev_b32_e32 v3, 2, v3
	v_add_lshl_u32 v3, v3, v4, 2
	ds_bpermute_b32 v9, v3, v5
	ds_bpermute_b32 v8, v3, v1
	ds_bpermute_b32 v3, v3, v2
	v_cmpx_lt_u32_e64 v10, v6
	s_cbranch_execz .LBB35_353
; %bb.348:
	v_and_b32_e32 v5, 1, v7
	s_mov_b32 s2, exec_lo
	s_delay_alu instid0(VALU_DEP_1)
	v_cmpx_eq_u32_e32 1, v5
	s_cbranch_execz .LBB35_352
; %bb.349:
	s_waitcnt lgkmcnt(2)
	v_and_b32_e32 v5, 1, v9
	s_mov_b32 s3, exec_lo
	s_delay_alu instid0(VALU_DEP_1)
	v_cmpx_eq_u32_e32 1, v5
	s_cbranch_execz .LBB35_351
; %bb.350:
	s_waitcnt lgkmcnt(1)
	v_cmp_gt_f32_e32 vcc_lo, v1, v8
	v_mov_b32_e32 v7, 1
	v_cndmask_b32_e32 v1, v1, v8, vcc_lo
	s_waitcnt lgkmcnt(0)
	v_cmp_lt_f32_e32 vcc_lo, v2, v3
	v_cndmask_b32_e32 v2, v2, v3, vcc_lo
.LBB35_351:
	s_or_b32 exec_lo, exec_lo, s3
	s_waitcnt lgkmcnt(1)
	v_dual_mov_b32 v9, v7 :: v_dual_mov_b32 v8, v1
	s_waitcnt lgkmcnt(0)
	v_mov_b32_e32 v3, v2
.LBB35_352:
	s_or_b32 exec_lo, exec_lo, s2
	s_waitcnt lgkmcnt(0)
	s_delay_alu instid0(VALU_DEP_1)
	v_dual_mov_b32 v2, v3 :: v_dual_and_b32 v5, 0xff, v9
	v_mov_b32_e32 v1, v8
	v_mov_b32_e32 v7, v9
.LBB35_353:
	s_or_b32 exec_lo, exec_lo, s1
	v_cmp_gt_u32_e32 vcc_lo, 24, v4
	v_add_nc_u32_e32 v10, 8, v4
	s_mov_b32 s1, exec_lo
	s_waitcnt lgkmcnt(0)
	v_cndmask_b32_e64 v3, 0, 1, vcc_lo
	s_delay_alu instid0(VALU_DEP_1) | instskip(NEXT) | instid1(VALU_DEP_1)
	v_lshlrev_b32_e32 v3, 3, v3
	v_add_lshl_u32 v3, v3, v4, 2
	;; [unrolled: 49-line block ×3, first 2 shown]
	ds_bpermute_b32 v9, v8, v5
	ds_bpermute_b32 v3, v8, v1
	;; [unrolled: 1-line block ×3, first 2 shown]
	v_cmpx_lt_u32_e64 v10, v6
	s_cbranch_execz .LBB35_365
; %bb.360:
	v_and_b32_e32 v5, 1, v7
	s_mov_b32 s2, exec_lo
	s_delay_alu instid0(VALU_DEP_1)
	v_cmpx_eq_u32_e32 1, v5
	s_cbranch_execz .LBB35_364
; %bb.361:
	s_waitcnt lgkmcnt(2)
	v_and_b32_e32 v5, 1, v9
	s_mov_b32 s3, exec_lo
	s_delay_alu instid0(VALU_DEP_1)
	v_cmpx_eq_u32_e32 1, v5
	s_cbranch_execz .LBB35_363
; %bb.362:
	s_waitcnt lgkmcnt(1)
	v_cmp_gt_f32_e32 vcc_lo, v1, v3
	v_mov_b32_e32 v7, 1
	v_cndmask_b32_e32 v1, v1, v3, vcc_lo
	s_waitcnt lgkmcnt(0)
	v_cmp_lt_f32_e32 vcc_lo, v2, v8
	v_cndmask_b32_e32 v2, v2, v8, vcc_lo
.LBB35_363:
	s_or_b32 exec_lo, exec_lo, s3
	s_waitcnt lgkmcnt(0)
	s_delay_alu instid0(VALU_DEP_1)
	v_dual_mov_b32 v9, v7 :: v_dual_mov_b32 v8, v2
	v_mov_b32_e32 v3, v1
.LBB35_364:
	s_or_b32 exec_lo, exec_lo, s2
	s_waitcnt lgkmcnt(0)
	s_delay_alu instid0(VALU_DEP_2)
	v_dual_mov_b32 v2, v8 :: v_dual_and_b32 v5, 0xff, v9
	v_mov_b32_e32 v7, v9
	v_mov_b32_e32 v1, v3
.LBB35_365:
	s_or_b32 exec_lo, exec_lo, s1
	s_delay_alu instid0(SALU_CYCLE_1)
	s_mov_b32 s1, exec_lo
	v_cmpx_eq_u32_e32 0, v4
	s_cbranch_execz .LBB35_367
; %bb.366:
	s_waitcnt lgkmcnt(1)
	v_lshrrev_b32_e32 v3, 5, v0
	s_delay_alu instid0(VALU_DEP_1)
	v_mul_u32_u24_e32 v3, 12, v3
	ds_store_b8 v3, v7
	ds_store_2addr_b32 v3, v1, v2 offset0:1 offset1:2
.LBB35_367:
	s_or_b32 exec_lo, exec_lo, s1
	s_delay_alu instid0(SALU_CYCLE_1)
	s_mov_b32 s1, exec_lo
	s_waitcnt lgkmcnt(0)
	s_barrier
	buffer_gl0_inv
	v_cmpx_gt_u32_e32 8, v0
	s_cbranch_execz .LBB35_387
; %bb.368:
	v_mul_u32_u24_e32 v1, 12, v4
	s_add_i32 s0, s0, 31
	ds_load_u8 v3, v1
	ds_load_2addr_b32 v[1:2], v1 offset0:1 offset1:2
	v_and_b32_e32 v6, 7, v4
	s_lshr_b32 s0, s0, 5
	s_delay_alu instid0(VALU_DEP_1) | instskip(SKIP_1) | instid1(VALU_DEP_1)
	v_cmp_ne_u32_e32 vcc_lo, 7, v6
	v_add_co_ci_u32_e32 v5, vcc_lo, 0, v4, vcc_lo
	v_lshlrev_b32_e32 v7, 2, v5
	s_waitcnt lgkmcnt(0)
	v_dual_mov_b32 v8, v2 :: v_dual_and_b32 v5, 0xff, v3
	ds_bpermute_b32 v9, v7, v1
	ds_bpermute_b32 v10, v7, v2
	;; [unrolled: 1-line block ×3, first 2 shown]
	v_add_nc_u32_e32 v7, 1, v6
	s_delay_alu instid0(VALU_DEP_1)
	v_cmp_gt_u32_e32 vcc_lo, s0, v7
	v_mov_b32_e32 v7, v1
	s_and_saveexec_b32 s2, vcc_lo
	s_cbranch_execz .LBB35_374
; %bb.369:
	v_and_b32_e32 v5, 1, v3
	s_mov_b32 s3, exec_lo
	s_delay_alu instid0(VALU_DEP_1)
	v_cmpx_eq_u32_e32 1, v5
	s_cbranch_execz .LBB35_373
; %bb.370:
	s_waitcnt lgkmcnt(0)
	v_and_b32_e32 v5, 1, v11
	s_mov_b32 s4, exec_lo
	s_delay_alu instid0(VALU_DEP_1)
	v_cmpx_eq_u32_e32 1, v5
; %bb.371:
	v_cmp_gt_f32_e32 vcc_lo, v1, v9
	v_mov_b32_e32 v3, 1
	v_cndmask_b32_e32 v1, v1, v9, vcc_lo
	v_cmp_lt_f32_e32 vcc_lo, v2, v10
	v_cndmask_b32_e32 v2, v2, v10, vcc_lo
; %bb.372:
	s_or_b32 exec_lo, exec_lo, s4
	s_delay_alu instid0(VALU_DEP_1)
	v_dual_mov_b32 v11, v3 :: v_dual_mov_b32 v10, v2
	v_mov_b32_e32 v9, v1
.LBB35_373:
	s_or_b32 exec_lo, exec_lo, s3
	s_waitcnt lgkmcnt(0)
	s_delay_alu instid0(VALU_DEP_2) | instskip(NEXT) | instid1(VALU_DEP_2)
	v_dual_mov_b32 v8, v10 :: v_dual_and_b32 v5, 0xff, v11
	v_dual_mov_b32 v7, v9 :: v_dual_mov_b32 v2, v10
	v_mov_b32_e32 v3, v11
	v_mov_b32_e32 v1, v9
.LBB35_374:
	s_or_b32 exec_lo, exec_lo, s2
	v_cmp_gt_u32_e32 vcc_lo, 6, v6
	v_add_nc_u32_e32 v12, 2, v6
	s_mov_b32 s2, exec_lo
	s_waitcnt lgkmcnt(2)
	v_cndmask_b32_e64 v9, 0, 1, vcc_lo
	s_delay_alu instid0(VALU_DEP_1) | instskip(SKIP_1) | instid1(VALU_DEP_1)
	v_lshlrev_b32_e32 v9, 1, v9
	s_waitcnt lgkmcnt(1)
	v_add_lshl_u32 v10, v9, v4, 2
	s_waitcnt lgkmcnt(0)
	ds_bpermute_b32 v11, v10, v5
	ds_bpermute_b32 v9, v10, v7
	ds_bpermute_b32 v10, v10, v8
	v_cmpx_gt_u32_e64 s0, v12
	s_cbranch_execz .LBB35_380
; %bb.375:
	v_and_b32_e32 v5, 1, v3
	s_mov_b32 s3, exec_lo
	s_delay_alu instid0(VALU_DEP_1)
	v_cmpx_eq_u32_e32 1, v5
	s_cbranch_execz .LBB35_379
; %bb.376:
	s_waitcnt lgkmcnt(2)
	v_and_b32_e32 v5, 1, v11
	s_mov_b32 s4, exec_lo
	s_delay_alu instid0(VALU_DEP_1)
	v_cmpx_eq_u32_e32 1, v5
	s_cbranch_execz .LBB35_378
; %bb.377:
	s_waitcnt lgkmcnt(1)
	v_cmp_gt_f32_e32 vcc_lo, v1, v9
	v_mov_b32_e32 v3, 1
	v_cndmask_b32_e32 v1, v1, v9, vcc_lo
	s_waitcnt lgkmcnt(0)
	v_cmp_lt_f32_e32 vcc_lo, v2, v10
	v_cndmask_b32_e32 v2, v2, v10, vcc_lo
.LBB35_378:
	s_or_b32 exec_lo, exec_lo, s4
	s_waitcnt lgkmcnt(0)
	s_delay_alu instid0(VALU_DEP_1)
	v_dual_mov_b32 v11, v3 :: v_dual_mov_b32 v10, v2
	v_mov_b32_e32 v9, v1
.LBB35_379:
	s_or_b32 exec_lo, exec_lo, s3
	s_waitcnt lgkmcnt(0)
	s_delay_alu instid0(VALU_DEP_2) | instskip(NEXT) | instid1(VALU_DEP_2)
	v_dual_mov_b32 v8, v10 :: v_dual_and_b32 v5, 0xff, v11
	v_dual_mov_b32 v7, v9 :: v_dual_mov_b32 v2, v10
	v_mov_b32_e32 v3, v11
	v_mov_b32_e32 v1, v9
.LBB35_380:
	s_or_b32 exec_lo, exec_lo, s2
	v_cmp_gt_u32_e32 vcc_lo, 4, v6
	v_add_nc_u32_e32 v6, 4, v6
	s_waitcnt lgkmcnt(1)
	v_cndmask_b32_e64 v9, 0, 1, vcc_lo
	s_delay_alu instid0(VALU_DEP_2) | instskip(NEXT) | instid1(VALU_DEP_2)
	v_cmp_gt_u32_e32 vcc_lo, s0, v6
	v_lshlrev_b32_e32 v9, 2, v9
	s_waitcnt lgkmcnt(0)
	s_delay_alu instid0(VALU_DEP_1)
	v_add_lshl_u32 v10, v9, v4, 2
	ds_bpermute_b32 v9, v10, v5
	ds_bpermute_b32 v4, v10, v7
	;; [unrolled: 1-line block ×3, first 2 shown]
	s_and_saveexec_b32 s0, vcc_lo
	s_cbranch_execz .LBB35_386
; %bb.381:
	v_and_b32_e32 v5, 1, v3
	s_mov_b32 s2, exec_lo
	s_delay_alu instid0(VALU_DEP_1)
	v_cmpx_eq_u32_e32 1, v5
	s_cbranch_execz .LBB35_385
; %bb.382:
	s_waitcnt lgkmcnt(2)
	v_and_b32_e32 v5, 1, v9
	s_mov_b32 s3, exec_lo
	s_delay_alu instid0(VALU_DEP_1)
	v_cmpx_eq_u32_e32 1, v5
	s_cbranch_execz .LBB35_384
; %bb.383:
	s_waitcnt lgkmcnt(1)
	v_cmp_gt_f32_e32 vcc_lo, v1, v4
	v_mov_b32_e32 v3, 1
	v_cndmask_b32_e32 v1, v1, v4, vcc_lo
	s_waitcnt lgkmcnt(0)
	v_cmp_lt_f32_e32 vcc_lo, v2, v7
	v_cndmask_b32_e32 v2, v2, v7, vcc_lo
.LBB35_384:
	s_or_b32 exec_lo, exec_lo, s3
	s_waitcnt lgkmcnt(1)
	v_dual_mov_b32 v9, v3 :: v_dual_mov_b32 v4, v1
	s_waitcnt lgkmcnt(0)
	v_mov_b32_e32 v7, v2
.LBB35_385:
	s_or_b32 exec_lo, exec_lo, s2
	s_waitcnt lgkmcnt(0)
	s_delay_alu instid0(VALU_DEP_1)
	v_dual_mov_b32 v2, v7 :: v_dual_and_b32 v5, 0xff, v9
	v_mov_b32_e32 v1, v4
.LBB35_386:
	s_or_b32 exec_lo, exec_lo, s0
.LBB35_387:
	s_delay_alu instid0(SALU_CYCLE_1)
	s_or_b32 exec_lo, exec_lo, s1
.LBB35_388:
                                        ; implicit-def: $vgpr4
                                        ; implicit-def: $vgpr6
	s_delay_alu instid0(SALU_CYCLE_1)
	s_mov_b32 s0, exec_lo
	v_cmpx_eq_u32_e32 0, v0
	s_xor_b32 s2, exec_lo, s0
	s_cbranch_execz .LBB35_394
; %bb.389:
	s_waitcnt lgkmcnt(1)
	v_dual_mov_b32 v4, s27 :: v_dual_mov_b32 v3, s26
	v_mov_b32_e32 v6, s30
	s_cmp_eq_u64 s[20:21], 0
	s_cbranch_scc1 .LBB35_393
; %bb.390:
	s_bitcmp0_b32 s30, 0
	s_cbranch_scc1 .LBB35_392
; %bb.391:
	v_and_b32_e32 v3, 1, v5
	v_cmp_gt_f32_e32 vcc_lo, s26, v1
	s_waitcnt lgkmcnt(0)
	v_cmp_lt_f32_e64 s1, s27, v2
	s_delay_alu instid0(VALU_DEP_3) | instskip(NEXT) | instid1(VALU_DEP_1)
	v_cmp_eq_u32_e64 s0, 1, v3
	s_and_b32 vcc_lo, s0, vcc_lo
	v_cndmask_b32_e64 v5, s30, 1, s0
	v_cndmask_b32_e32 v1, s26, v1, vcc_lo
	s_and_b32 vcc_lo, s0, s1
	v_cndmask_b32_e32 v2, s27, v2, vcc_lo
.LBB35_392:
	s_waitcnt lgkmcnt(0)
	s_delay_alu instid0(VALU_DEP_1)
	v_dual_mov_b32 v4, v2 :: v_dual_mov_b32 v3, v1
	v_mov_b32_e32 v6, v5
.LBB35_393:
	s_or_b32 s10, s10, exec_lo
.LBB35_394:
	s_or_b32 exec_lo, exec_lo, s2
	s_branch .LBB35_437
.LBB35_395:
	s_cmp_eq_u32 s28, 4
	s_cbranch_scc0 .LBB35_436
; %bb.396:
	s_mov_b32 s25, 0
	s_lshl_b32 s6, s24, 10
	s_mov_b32 s7, s25
	s_lshr_b64 s[0:1], s[20:21], 10
	s_lshl_b64 s[2:3], s[6:7], 2
	s_add_i32 s7, s29, s6
	s_add_u32 s4, s16, s2
	s_addc_u32 s5, s17, s3
	s_cmp_lg_u64 s[0:1], s[24:25]
	s_cbranch_scc0 .LBB35_438
; %bb.397:
	s_abs_i32 s2, s19
	v_add_nc_u32_e32 v3, s7, v0
	s_waitcnt lgkmcnt(1)
	v_cvt_f32_u32_e32 v1, s2
	s_sub_i32 s0, 0, s2
	s_delay_alu instid0(VALU_DEP_2) | instskip(NEXT) | instid1(VALU_DEP_2)
	v_sub_nc_u32_e32 v9, 0, v3
	v_rcp_iflag_f32_e32 v1, v1
	v_add_nc_u32_e32 v8, 0x100, v3
	s_delay_alu instid0(VALU_DEP_2) | instskip(NEXT) | instid1(VALU_DEP_2)
	v_max_i32_e32 v9, v3, v9
	v_sub_nc_u32_e32 v10, 0, v8
	s_waitcnt_depctr 0xfff
	v_mul_f32_e32 v1, 0x4f7ffffe, v1
	s_delay_alu instid0(VALU_DEP_1) | instskip(SKIP_1) | instid1(VALU_DEP_1)
	v_cvt_u32_f32_e32 v1, v1
	s_waitcnt lgkmcnt(0)
	v_mul_lo_u32 v2, s0, v1
	s_delay_alu instid0(VALU_DEP_1) | instskip(NEXT) | instid1(VALU_DEP_1)
	v_mul_hi_u32 v2, v1, v2
	v_add_nc_u32_e32 v13, v1, v2
	v_max_i32_e32 v1, v8, v10
	s_delay_alu instid0(VALU_DEP_2) | instskip(NEXT) | instid1(VALU_DEP_2)
	v_mul_hi_u32 v2, v9, v13
	v_mul_hi_u32 v10, v1, v13
	s_delay_alu instid0(VALU_DEP_2) | instskip(NEXT) | instid1(VALU_DEP_2)
	v_mul_lo_u32 v2, v2, s2
	v_mul_lo_u32 v10, v10, s2
	s_delay_alu instid0(VALU_DEP_2) | instskip(NEXT) | instid1(VALU_DEP_2)
	v_sub_nc_u32_e32 v2, v9, v2
	v_sub_nc_u32_e32 v1, v1, v10
	s_delay_alu instid0(VALU_DEP_2) | instskip(SKIP_2) | instid1(VALU_DEP_4)
	v_subrev_nc_u32_e32 v9, s2, v2
	v_cmp_le_u32_e32 vcc_lo, s2, v2
	v_lshlrev_b32_e32 v7, 2, v0
	v_subrev_nc_u32_e32 v10, s2, v1
	s_delay_alu instid0(VALU_DEP_4)
	v_cndmask_b32_e32 v2, v2, v9, vcc_lo
	s_clause 0x2
	global_load_b32 v5, v7, s[4:5] offset:1024
	global_load_b32 v6, v7, s[4:5] offset:2048
	;; [unrolled: 1-line block ×3, first 2 shown]
	v_cmp_le_u32_e32 vcc_lo, s2, v1
	v_subrev_nc_u32_e32 v9, s2, v2
	v_cndmask_b32_e32 v1, v1, v10, vcc_lo
	v_cmp_le_u32_e32 vcc_lo, s2, v2
	v_ashrrev_i32_e32 v8, 31, v8
	s_delay_alu instid0(VALU_DEP_3)
	v_subrev_nc_u32_e32 v11, s2, v1
	v_cndmask_b32_e32 v2, v2, v9, vcc_lo
	v_cmp_le_u32_e32 vcc_lo, s2, v1
	v_ashrrev_i32_e32 v10, 31, v3
	v_add_nc_u32_e32 v14, 0x200, v3
	v_add_nc_u32_e32 v15, 0x300, v3
	v_cndmask_b32_e32 v1, v1, v11, vcc_lo
	s_delay_alu instid0(VALU_DEP_4) | instskip(NEXT) | instid1(VALU_DEP_4)
	v_xor_b32_e32 v2, v2, v10
	v_sub_nc_u32_e32 v3, 0, v14
	s_delay_alu instid0(VALU_DEP_4) | instskip(NEXT) | instid1(VALU_DEP_4)
	v_sub_nc_u32_e32 v9, 0, v15
	v_xor_b32_e32 v1, v1, v8
	s_delay_alu instid0(VALU_DEP_4) | instskip(NEXT) | instid1(VALU_DEP_4)
	v_sub_nc_u32_e32 v2, v2, v10
	v_max_i32_e32 v12, v14, v3
	s_delay_alu instid0(VALU_DEP_4) | instskip(SKIP_4) | instid1(VALU_DEP_3)
	v_max_i32_e32 v11, v15, v9
	v_ashrrev_i32_e32 v10, 31, v14
	v_sub_nc_u32_e32 v1, v1, v8
	v_cmp_gt_i32_e64 s0, s18, v2
	v_mad_u64_u32 v[2:3], null, v12, v13, 0
	v_cmp_gt_i32_e32 vcc_lo, s18, v1
	v_mad_u64_u32 v[1:2], null, v11, v13, 0
	v_ashrrev_i32_e32 v1, 31, v15
	v_cndmask_b32_e64 v9, 0, 1, vcc_lo
	s_waitcnt vmcnt(2)
	v_mov_b32_e32 v8, v5
	s_and_saveexec_b32 s3, s0
	s_cbranch_execz .LBB35_399
; %bb.398:
	v_add_co_u32 v7, s0, s4, v7
	s_delay_alu instid0(VALU_DEP_1)
	v_add_co_ci_u32_e64 v8, null, s5, 0, s0
	v_mov_b32_e32 v9, 1
	global_load_b32 v7, v[7:8], off
	s_waitcnt vmcnt(0)
	v_cmp_lt_f32_e64 s0, v5, v7
	v_cmp_lt_f32_e64 s1, v7, v5
	s_delay_alu instid0(VALU_DEP_2) | instskip(NEXT) | instid1(VALU_DEP_1)
	s_and_b32 s0, vcc_lo, s0
	s_and_b32 vcc_lo, vcc_lo, s1
	v_cndmask_b32_e64 v13, v7, v5, s0
	s_delay_alu instid0(VALU_DEP_1)
	v_dual_cndmask_b32 v8, v7, v5 :: v_dual_mov_b32 v5, v13
.LBB35_399:
	s_or_b32 exec_lo, exec_lo, s3
	v_mul_lo_u32 v3, v3, s2
	v_mul_lo_u32 v2, v2, s2
	s_waitcnt vmcnt(1)
	v_cmp_lt_f32_e64 s1, v6, v5
	v_cmp_lt_f32_e64 s0, v8, v6
	s_delay_alu instid0(VALU_DEP_4) | instskip(NEXT) | instid1(VALU_DEP_4)
	v_sub_nc_u32_e32 v3, v12, v3
	v_sub_nc_u32_e32 v2, v11, v2
	s_delay_alu instid0(VALU_DEP_2) | instskip(SKIP_1) | instid1(VALU_DEP_2)
	v_subrev_nc_u32_e32 v7, s2, v3
	v_cmp_le_u32_e32 vcc_lo, s2, v3
	v_cndmask_b32_e32 v3, v3, v7, vcc_lo
	s_delay_alu instid0(VALU_DEP_4) | instskip(SKIP_1) | instid1(VALU_DEP_3)
	v_subrev_nc_u32_e32 v7, s2, v2
	v_cmp_le_u32_e32 vcc_lo, s2, v2
	v_subrev_nc_u32_e32 v11, s2, v3
	s_delay_alu instid0(VALU_DEP_3) | instskip(SKIP_1) | instid1(VALU_DEP_2)
	v_cndmask_b32_e32 v2, v2, v7, vcc_lo
	v_cmp_le_u32_e32 vcc_lo, s2, v3
	v_subrev_nc_u32_e32 v7, s2, v2
	s_delay_alu instid0(VALU_DEP_4) | instskip(SKIP_1) | instid1(VALU_DEP_2)
	v_cndmask_b32_e32 v3, v3, v11, vcc_lo
	v_cmp_le_u32_e32 vcc_lo, s2, v2
	v_xor_b32_e32 v3, v3, v10
	s_delay_alu instid0(VALU_DEP_4) | instskip(NEXT) | instid1(VALU_DEP_2)
	v_cndmask_b32_e32 v2, v2, v7, vcc_lo
	v_sub_nc_u32_e32 v3, v3, v10
	s_delay_alu instid0(VALU_DEP_2) | instskip(NEXT) | instid1(VALU_DEP_2)
	v_xor_b32_e32 v2, v2, v1
	v_cmp_gt_i32_e32 vcc_lo, s18, v3
	v_and_b32_e32 v3, 1, v9
	s_delay_alu instid0(VALU_DEP_3) | instskip(SKIP_2) | instid1(VALU_DEP_4)
	v_sub_nc_u32_e32 v1, v2, v1
	v_cndmask_b32_e64 v2, 0, 1, vcc_lo
	v_cndmask_b32_e64 v7, v9, 1, vcc_lo
	v_cmp_eq_u32_e64 s3, 1, v3
	s_and_b32 s1, vcc_lo, s1
	s_and_b32 vcc_lo, vcc_lo, s0
	v_cndmask_b32_e64 v3, v5, v6, s1
	v_cndmask_b32_e32 v5, v8, v6, vcc_lo
	v_cndmask_b32_e64 v2, v2, v7, s3
	v_cmp_gt_i32_e64 s2, s18, v1
	s_delay_alu instid0(VALU_DEP_4) | instskip(NEXT) | instid1(VALU_DEP_4)
	v_cndmask_b32_e64 v8, v6, v3, s3
	v_cndmask_b32_e64 v5, v6, v5, s3
	s_delay_alu instid0(VALU_DEP_4) | instskip(NEXT) | instid1(VALU_DEP_4)
	v_and_b32_e32 v7, 1, v2
	v_cndmask_b32_e64 v1, 0, 1, s2
	v_cndmask_b32_e64 v2, v2, 1, s2
	s_waitcnt vmcnt(0)
	v_cmp_lt_f32_e64 s0, v4, v8
	v_cmp_lt_f32_e64 s1, v5, v4
	v_cmp_eq_u32_e32 vcc_lo, 1, v7
	s_delay_alu instid0(VALU_DEP_3) | instskip(SKIP_3) | instid1(SALU_CYCLE_1)
	s_and_b32 s0, s2, s0
	v_cndmask_b32_e32 v3, v1, v2, vcc_lo
	v_cndmask_b32_e64 v2, v8, v4, s0
	s_and_b32 s0, s2, s1
	v_cndmask_b32_e64 v5, v5, v4, s0
	s_delay_alu instid0(VALU_DEP_3) | instskip(SKIP_1) | instid1(VALU_DEP_1)
	v_and_b32_e32 v1, 0xffff, v3
	s_mov_b32 s0, exec_lo
	v_mov_b32_dpp v6, v1 quad_perm:[1,0,3,2] row_mask:0xf bank_mask:0xf
	v_cndmask_b32_e32 v1, v4, v2, vcc_lo
	s_delay_alu instid0(VALU_DEP_2) | instskip(NEXT) | instid1(VALU_DEP_2)
	v_dual_cndmask_b32 v2, v4, v5 :: v_dual_and_b32 v7, 1, v6
	v_mov_b32_dpp v5, v1 quad_perm:[1,0,3,2] row_mask:0xf bank_mask:0xf
	s_delay_alu instid0(VALU_DEP_2) | instskip(NEXT) | instid1(VALU_DEP_3)
	v_mov_b32_dpp v4, v2 quad_perm:[1,0,3,2] row_mask:0xf bank_mask:0xf
	v_cmpx_eq_u32_e32 1, v7
	s_xor_b32 s0, exec_lo, s0
	s_cbranch_execz .LBB35_403
; %bb.400:
	v_and_b32_e32 v3, 1, v3
	s_mov_b32 s1, exec_lo
	s_delay_alu instid0(VALU_DEP_1)
	v_cmpx_eq_u32_e32 1, v3
; %bb.401:
	v_cmp_gt_f32_e32 vcc_lo, v2, v4
	v_mov_b32_e32 v6, 1
	v_cndmask_b32_e32 v4, v4, v2, vcc_lo
	v_cmp_lt_f32_e32 vcc_lo, v1, v5
	v_cndmask_b32_e32 v5, v5, v1, vcc_lo
; %bb.402:
	s_or_b32 exec_lo, exec_lo, s1
	s_delay_alu instid0(VALU_DEP_3) | instskip(NEXT) | instid1(VALU_DEP_2)
	v_dual_mov_b32 v3, v6 :: v_dual_mov_b32 v2, v4
	v_mov_b32_e32 v1, v5
.LBB35_403:
	s_or_b32 exec_lo, exec_lo, s0
	s_delay_alu instid0(VALU_DEP_2) | instskip(NEXT) | instid1(VALU_DEP_2)
	v_and_b32_e32 v4, 0xff, v3
	v_mov_b32_dpp v5, v1 quad_perm:[2,3,0,1] row_mask:0xf bank_mask:0xf
	s_mov_b32 s0, exec_lo
	s_delay_alu instid0(VALU_DEP_2) | instskip(SKIP_1) | instid1(VALU_DEP_2)
	v_mov_b32_dpp v6, v4 quad_perm:[2,3,0,1] row_mask:0xf bank_mask:0xf
	v_mov_b32_dpp v4, v2 quad_perm:[2,3,0,1] row_mask:0xf bank_mask:0xf
	v_and_b32_e32 v7, 1, v6
	s_delay_alu instid0(VALU_DEP_1)
	v_cmpx_eq_u32_e32 1, v7
	s_cbranch_execz .LBB35_407
; %bb.404:
	v_and_b32_e32 v3, 1, v3
	s_mov_b32 s1, exec_lo
	s_delay_alu instid0(VALU_DEP_1)
	v_cmpx_eq_u32_e32 1, v3
; %bb.405:
	v_cmp_gt_f32_e32 vcc_lo, v2, v4
	v_mov_b32_e32 v6, 1
	v_cndmask_b32_e32 v4, v4, v2, vcc_lo
	v_cmp_lt_f32_e32 vcc_lo, v1, v5
	v_cndmask_b32_e32 v5, v5, v1, vcc_lo
; %bb.406:
	s_or_b32 exec_lo, exec_lo, s1
	s_delay_alu instid0(VALU_DEP_3) | instskip(NEXT) | instid1(VALU_DEP_2)
	v_dual_mov_b32 v3, v6 :: v_dual_mov_b32 v2, v4
	v_mov_b32_e32 v1, v5
.LBB35_407:
	s_or_b32 exec_lo, exec_lo, s0
	s_delay_alu instid0(VALU_DEP_2) | instskip(NEXT) | instid1(VALU_DEP_2)
	v_and_b32_e32 v4, 0xff, v3
	v_mov_b32_dpp v5, v1 row_ror:4 row_mask:0xf bank_mask:0xf
	s_mov_b32 s0, exec_lo
	s_delay_alu instid0(VALU_DEP_2) | instskip(SKIP_1) | instid1(VALU_DEP_2)
	v_mov_b32_dpp v6, v4 row_ror:4 row_mask:0xf bank_mask:0xf
	v_mov_b32_dpp v4, v2 row_ror:4 row_mask:0xf bank_mask:0xf
	v_and_b32_e32 v7, 1, v6
	s_delay_alu instid0(VALU_DEP_1)
	v_cmpx_eq_u32_e32 1, v7
	s_cbranch_execz .LBB35_411
; %bb.408:
	v_and_b32_e32 v3, 1, v3
	s_mov_b32 s1, exec_lo
	s_delay_alu instid0(VALU_DEP_1)
	v_cmpx_eq_u32_e32 1, v3
; %bb.409:
	v_cmp_gt_f32_e32 vcc_lo, v2, v4
	v_mov_b32_e32 v6, 1
	v_cndmask_b32_e32 v4, v4, v2, vcc_lo
	v_cmp_lt_f32_e32 vcc_lo, v1, v5
	v_cndmask_b32_e32 v5, v5, v1, vcc_lo
; %bb.410:
	s_or_b32 exec_lo, exec_lo, s1
	s_delay_alu instid0(VALU_DEP_3) | instskip(NEXT) | instid1(VALU_DEP_2)
	v_dual_mov_b32 v3, v6 :: v_dual_mov_b32 v2, v4
	v_mov_b32_e32 v1, v5
.LBB35_411:
	s_or_b32 exec_lo, exec_lo, s0
	s_delay_alu instid0(VALU_DEP_2) | instskip(NEXT) | instid1(VALU_DEP_2)
	v_and_b32_e32 v4, 0xff, v3
	v_mov_b32_dpp v5, v1 row_ror:8 row_mask:0xf bank_mask:0xf
	s_mov_b32 s0, exec_lo
	s_delay_alu instid0(VALU_DEP_2) | instskip(SKIP_1) | instid1(VALU_DEP_2)
	v_mov_b32_dpp v6, v4 row_ror:8 row_mask:0xf bank_mask:0xf
	v_mov_b32_dpp v4, v2 row_ror:8 row_mask:0xf bank_mask:0xf
	v_and_b32_e32 v7, 1, v6
	s_delay_alu instid0(VALU_DEP_1)
	v_cmpx_eq_u32_e32 1, v7
	s_cbranch_execz .LBB35_415
; %bb.412:
	v_and_b32_e32 v3, 1, v3
	s_mov_b32 s1, exec_lo
	s_delay_alu instid0(VALU_DEP_1)
	v_cmpx_eq_u32_e32 1, v3
; %bb.413:
	v_cmp_gt_f32_e32 vcc_lo, v2, v4
	v_mov_b32_e32 v6, 1
	v_cndmask_b32_e32 v4, v4, v2, vcc_lo
	v_cmp_lt_f32_e32 vcc_lo, v1, v5
	v_cndmask_b32_e32 v5, v5, v1, vcc_lo
; %bb.414:
	s_or_b32 exec_lo, exec_lo, s1
	s_delay_alu instid0(VALU_DEP_3) | instskip(NEXT) | instid1(VALU_DEP_2)
	v_dual_mov_b32 v3, v6 :: v_dual_mov_b32 v2, v4
	v_mov_b32_e32 v1, v5
.LBB35_415:
	s_or_b32 exec_lo, exec_lo, s0
	s_delay_alu instid0(VALU_DEP_2)
	v_and_b32_e32 v4, 0xff, v3
	ds_swizzle_b32 v5, v1 offset:swizzle(BROADCAST,32,15)
	s_mov_b32 s0, exec_lo
	ds_swizzle_b32 v6, v4 offset:swizzle(BROADCAST,32,15)
	ds_swizzle_b32 v4, v2 offset:swizzle(BROADCAST,32,15)
	s_waitcnt lgkmcnt(1)
	v_and_b32_e32 v7, 1, v6
	s_delay_alu instid0(VALU_DEP_1)
	v_cmpx_eq_u32_e32 1, v7
	s_cbranch_execz .LBB35_419
; %bb.416:
	v_and_b32_e32 v3, 1, v3
	s_mov_b32 s1, exec_lo
	s_delay_alu instid0(VALU_DEP_1)
	v_cmpx_eq_u32_e32 1, v3
	s_cbranch_execz .LBB35_418
; %bb.417:
	s_waitcnt lgkmcnt(0)
	v_cmp_gt_f32_e32 vcc_lo, v2, v4
	v_mov_b32_e32 v6, 1
	v_cndmask_b32_e32 v4, v4, v2, vcc_lo
	v_cmp_lt_f32_e32 vcc_lo, v1, v5
	v_cndmask_b32_e32 v5, v5, v1, vcc_lo
.LBB35_418:
	s_or_b32 exec_lo, exec_lo, s1
	s_waitcnt lgkmcnt(0)
	v_dual_mov_b32 v3, v6 :: v_dual_mov_b32 v2, v4
	s_delay_alu instid0(VALU_DEP_2)
	v_mov_b32_e32 v1, v5
.LBB35_419:
	s_or_b32 exec_lo, exec_lo, s0
	s_waitcnt lgkmcnt(0)
	s_delay_alu instid0(VALU_DEP_2)
	v_dual_mov_b32 v4, 0 :: v_dual_and_b32 v3, 0xff, v3
	s_mov_b32 s0, exec_lo
	ds_bpermute_b32 v5, v4, v3 offset:124
	ds_bpermute_b32 v1, v4, v1 offset:124
	;; [unrolled: 1-line block ×3, first 2 shown]
	v_mbcnt_lo_u32_b32 v3, -1, 0
	s_delay_alu instid0(VALU_DEP_1)
	v_cmpx_eq_u32_e32 0, v3
	s_cbranch_execz .LBB35_421
; %bb.420:
	v_lshrrev_b32_e32 v4, 5, v0
	s_delay_alu instid0(VALU_DEP_1)
	v_mul_u32_u24_e32 v4, 12, v4
	s_waitcnt lgkmcnt(2)
	ds_store_b8 v4, v5 offset:384
	s_waitcnt lgkmcnt(1)
	ds_store_2addr_b32 v4, v1, v2 offset0:97 offset1:98
.LBB35_421:
	s_or_b32 exec_lo, exec_lo, s0
	s_delay_alu instid0(SALU_CYCLE_1)
	s_mov_b32 s0, exec_lo
	s_waitcnt lgkmcnt(0)
	s_barrier
	buffer_gl0_inv
	v_cmpx_gt_u32_e32 32, v0
	s_cbranch_execz .LBB35_435
; %bb.422:
	v_and_b32_e32 v4, 7, v3
	s_mov_b32 s1, exec_lo
	s_delay_alu instid0(VALU_DEP_1) | instskip(SKIP_4) | instid1(VALU_DEP_1)
	v_mul_u32_u24_e32 v1, 12, v4
	v_cmp_ne_u32_e32 vcc_lo, 7, v4
	ds_load_u8 v7, v1 offset:384
	ds_load_2addr_b32 v[1:2], v1 offset0:97 offset1:98
	v_add_co_ci_u32_e32 v5, vcc_lo, 0, v3, vcc_lo
	v_lshlrev_b32_e32 v5, 2, v5
	s_waitcnt lgkmcnt(1)
	v_and_b32_e32 v8, 0xff, v7
	s_waitcnt lgkmcnt(0)
	ds_bpermute_b32 v6, v5, v1
	ds_bpermute_b32 v10, v5, v8
	;; [unrolled: 1-line block ×3, first 2 shown]
	v_and_b32_e32 v8, 1, v7
	s_delay_alu instid0(VALU_DEP_1)
	v_cmpx_eq_u32_e32 1, v8
	s_cbranch_execz .LBB35_426
; %bb.423:
	s_waitcnt lgkmcnt(1)
	v_and_b32_e32 v8, 1, v10
	s_mov_b32 s2, exec_lo
	s_delay_alu instid0(VALU_DEP_1)
	v_cmpx_eq_u32_e32 1, v8
	s_cbranch_execz .LBB35_425
; %bb.424:
	v_cmp_gt_f32_e32 vcc_lo, v1, v6
	v_mov_b32_e32 v7, 1
	v_cndmask_b32_e32 v1, v1, v6, vcc_lo
	s_waitcnt lgkmcnt(0)
	v_cmp_lt_f32_e32 vcc_lo, v2, v5
	v_cndmask_b32_e32 v2, v2, v5, vcc_lo
.LBB35_425:
	s_or_b32 exec_lo, exec_lo, s2
	s_waitcnt lgkmcnt(0)
	s_delay_alu instid0(VALU_DEP_1)
	v_dual_mov_b32 v10, v7 :: v_dual_mov_b32 v5, v2
	v_mov_b32_e32 v6, v1
.LBB35_426:
	s_or_b32 exec_lo, exec_lo, s1
	v_cmp_gt_u32_e32 vcc_lo, 6, v4
	s_waitcnt lgkmcnt(1)
	v_and_b32_e32 v2, 0xff, v10
	s_mov_b32 s1, exec_lo
	v_cndmask_b32_e64 v1, 0, 1, vcc_lo
	s_delay_alu instid0(VALU_DEP_1) | instskip(NEXT) | instid1(VALU_DEP_1)
	v_lshlrev_b32_e32 v1, 1, v1
	v_add_lshl_u32 v1, v1, v3, 2
	ds_bpermute_b32 v9, v1, v2
	ds_bpermute_b32 v8, v1, v6
	s_waitcnt lgkmcnt(2)
	ds_bpermute_b32 v7, v1, v5
	v_and_b32_e32 v1, 1, v10
	s_delay_alu instid0(VALU_DEP_1)
	v_cmpx_eq_u32_e32 1, v1
	s_cbranch_execz .LBB35_430
; %bb.427:
	s_waitcnt lgkmcnt(2)
	v_and_b32_e32 v1, 1, v9
	s_mov_b32 s2, exec_lo
	s_delay_alu instid0(VALU_DEP_1)
	v_cmpx_eq_u32_e32 1, v1
	s_cbranch_execz .LBB35_429
; %bb.428:
	s_waitcnt lgkmcnt(1)
	v_cmp_gt_f32_e32 vcc_lo, v6, v8
	v_mov_b32_e32 v10, 1
	v_cndmask_b32_e32 v6, v6, v8, vcc_lo
	s_waitcnt lgkmcnt(0)
	v_cmp_lt_f32_e32 vcc_lo, v5, v7
	v_cndmask_b32_e32 v5, v5, v7, vcc_lo
.LBB35_429:
	s_or_b32 exec_lo, exec_lo, s2
	v_mov_b32_e32 v9, v10
	s_waitcnt lgkmcnt(0)
	s_delay_alu instid0(VALU_DEP_2)
	v_dual_mov_b32 v8, v6 :: v_dual_mov_b32 v7, v5
.LBB35_430:
	s_or_b32 exec_lo, exec_lo, s1
	v_cmp_gt_u32_e32 vcc_lo, 4, v4
	s_waitcnt lgkmcnt(2)
	v_and_b32_e32 v2, 0xff, v9
	s_mov_b32 s1, exec_lo
	v_cndmask_b32_e64 v1, 0, 1, vcc_lo
	s_delay_alu instid0(VALU_DEP_1) | instskip(NEXT) | instid1(VALU_DEP_1)
	v_lshlrev_b32_e32 v1, 2, v1
	v_add_lshl_u32 v4, v1, v3, 2
	ds_bpermute_b32 v3, v4, v2
	s_waitcnt lgkmcnt(2)
	ds_bpermute_b32 v1, v4, v8
	s_waitcnt lgkmcnt(2)
	ds_bpermute_b32 v2, v4, v7
	v_and_b32_e32 v4, 1, v9
	s_delay_alu instid0(VALU_DEP_1)
	v_cmpx_eq_u32_e32 1, v4
	s_cbranch_execz .LBB35_434
; %bb.431:
	s_waitcnt lgkmcnt(2)
	v_and_b32_e32 v3, 1, v3
	s_mov_b32 s2, exec_lo
	s_delay_alu instid0(VALU_DEP_1)
	v_cmpx_eq_u32_e32 1, v3
	s_cbranch_execz .LBB35_433
; %bb.432:
	s_waitcnt lgkmcnt(1)
	v_cmp_gt_f32_e32 vcc_lo, v8, v1
	v_dual_mov_b32 v9, 1 :: v_dual_cndmask_b32 v8, v8, v1
	s_waitcnt lgkmcnt(0)
	v_cmp_lt_f32_e32 vcc_lo, v7, v2
	v_cndmask_b32_e32 v7, v7, v2, vcc_lo
.LBB35_433:
	s_or_b32 exec_lo, exec_lo, s2
	s_waitcnt lgkmcnt(0)
	s_delay_alu instid0(VALU_DEP_1)
	v_dual_mov_b32 v3, v9 :: v_dual_mov_b32 v2, v7
	v_mov_b32_e32 v1, v8
.LBB35_434:
	s_or_b32 exec_lo, exec_lo, s1
	s_waitcnt lgkmcnt(2)
	s_delay_alu instid0(VALU_DEP_2)
	v_and_b32_e32 v5, 0xff, v3
.LBB35_435:
	s_or_b32 exec_lo, exec_lo, s0
	s_branch .LBB35_518
.LBB35_436:
                                        ; implicit-def: $vgpr4
                                        ; implicit-def: $vgpr6
.LBB35_437:
	s_branch .LBB35_680
.LBB35_438:
                                        ; implicit-def: $vgpr2
                                        ; implicit-def: $vgpr5
	s_cbranch_execz .LBB35_518
; %bb.439:
	s_waitcnt lgkmcnt(1)
	v_mov_b32_e32 v1, 0
	v_mov_b32_e32 v3, 0
	s_waitcnt lgkmcnt(0)
	v_mov_b32_e32 v7, 0
	s_sub_i32 s3, s20, s6
	s_mov_b32 s0, exec_lo
	v_cmpx_gt_u32_e64 s3, v0
	s_cbranch_execz .LBB35_441
; %bb.440:
	s_abs_i32 s1, s19
	v_add_nc_u32_e32 v5, s7, v0
	v_cvt_f32_u32_e32 v2, s1
	s_sub_i32 s2, 0, s1
	s_delay_alu instid0(VALU_DEP_2) | instskip(NEXT) | instid1(VALU_DEP_2)
	v_sub_nc_u32_e32 v6, 0, v5
	v_rcp_iflag_f32_e32 v2, v2
	v_lshlrev_b32_e32 v1, 2, v0
	s_delay_alu instid0(VALU_DEP_2)
	v_max_i32_e32 v6, v5, v6
	v_ashrrev_i32_e32 v5, 31, v5
	s_waitcnt_depctr 0xfff
	v_mul_f32_e32 v2, 0x4f7ffffe, v2
	global_load_b32 v1, v1, s[4:5]
	v_cvt_u32_f32_e32 v2, v2
	s_delay_alu instid0(VALU_DEP_1) | instskip(NEXT) | instid1(VALU_DEP_1)
	v_mul_lo_u32 v4, s2, v2
	v_mul_hi_u32 v4, v2, v4
	s_delay_alu instid0(VALU_DEP_1) | instskip(NEXT) | instid1(VALU_DEP_1)
	v_add_nc_u32_e32 v2, v2, v4
	v_mul_hi_u32 v2, v6, v2
	s_delay_alu instid0(VALU_DEP_1) | instskip(NEXT) | instid1(VALU_DEP_1)
	v_mul_lo_u32 v2, v2, s1
	v_sub_nc_u32_e32 v2, v6, v2
	s_delay_alu instid0(VALU_DEP_1) | instskip(SKIP_1) | instid1(VALU_DEP_2)
	v_subrev_nc_u32_e32 v4, s1, v2
	v_cmp_le_u32_e32 vcc_lo, s1, v2
	v_cndmask_b32_e32 v2, v2, v4, vcc_lo
	s_delay_alu instid0(VALU_DEP_1) | instskip(SKIP_1) | instid1(VALU_DEP_2)
	v_subrev_nc_u32_e32 v4, s1, v2
	v_cmp_le_u32_e32 vcc_lo, s1, v2
	v_cndmask_b32_e32 v2, v2, v4, vcc_lo
	s_delay_alu instid0(VALU_DEP_1) | instskip(NEXT) | instid1(VALU_DEP_1)
	v_xor_b32_e32 v2, v2, v5
	v_sub_nc_u32_e32 v2, v2, v5
	s_delay_alu instid0(VALU_DEP_1)
	v_cmp_gt_i32_e32 vcc_lo, s18, v2
	v_cndmask_b32_e64 v7, 0, 1, vcc_lo
.LBB35_441:
	s_or_b32 exec_lo, exec_lo, s0
	v_or_b32_e32 v2, 0x100, v0
	v_mov_b32_e32 v9, 0
	s_delay_alu instid0(VALU_DEP_2) | instskip(NEXT) | instid1(VALU_DEP_1)
	v_cmp_gt_u32_e64 s1, s3, v2
	s_and_saveexec_b32 s0, s1
	s_cbranch_execz .LBB35_443
; %bb.442:
	s_abs_i32 s2, s19
	v_add_nc_u32_e32 v2, s7, v2
	v_cvt_f32_u32_e32 v4, s2
	s_sub_i32 s6, 0, s2
	s_delay_alu instid0(VALU_DEP_2) | instskip(NEXT) | instid1(VALU_DEP_2)
	v_sub_nc_u32_e32 v6, 0, v2
	v_rcp_iflag_f32_e32 v4, v4
	s_delay_alu instid0(VALU_DEP_1) | instskip(SKIP_3) | instid1(VALU_DEP_1)
	v_max_i32_e32 v6, v2, v6
	v_ashrrev_i32_e32 v2, 31, v2
	s_waitcnt_depctr 0xfff
	v_mul_f32_e32 v4, 0x4f7ffffe, v4
	v_cvt_u32_f32_e32 v4, v4
	s_delay_alu instid0(VALU_DEP_1) | instskip(NEXT) | instid1(VALU_DEP_1)
	v_mul_lo_u32 v5, s6, v4
	v_mul_hi_u32 v5, v4, v5
	s_delay_alu instid0(VALU_DEP_1) | instskip(NEXT) | instid1(VALU_DEP_1)
	v_add_nc_u32_e32 v4, v4, v5
	v_mul_hi_u32 v4, v6, v4
	s_delay_alu instid0(VALU_DEP_1) | instskip(NEXT) | instid1(VALU_DEP_1)
	v_mul_lo_u32 v4, v4, s2
	v_sub_nc_u32_e32 v4, v6, v4
	s_delay_alu instid0(VALU_DEP_1) | instskip(SKIP_1) | instid1(VALU_DEP_2)
	v_subrev_nc_u32_e32 v5, s2, v4
	v_cmp_le_u32_e32 vcc_lo, s2, v4
	v_dual_cndmask_b32 v4, v4, v5 :: v_dual_lshlrev_b32 v3, 2, v0
	global_load_b32 v3, v3, s[4:5] offset:1024
	v_subrev_nc_u32_e32 v5, s2, v4
	v_cmp_le_u32_e32 vcc_lo, s2, v4
	s_delay_alu instid0(VALU_DEP_2) | instskip(NEXT) | instid1(VALU_DEP_1)
	v_cndmask_b32_e32 v4, v4, v5, vcc_lo
	v_xor_b32_e32 v4, v4, v2
	s_delay_alu instid0(VALU_DEP_1) | instskip(NEXT) | instid1(VALU_DEP_1)
	v_sub_nc_u32_e32 v2, v4, v2
	v_cmp_gt_i32_e32 vcc_lo, s18, v2
	v_cndmask_b32_e64 v9, 0, 1, vcc_lo
.LBB35_443:
	s_or_b32 exec_lo, exec_lo, s0
	v_or_b32_e32 v2, 0x200, v0
	v_mov_b32_e32 v6, 0
	v_mov_b32_e32 v4, 0
	;; [unrolled: 1-line block ×3, first 2 shown]
	s_delay_alu instid0(VALU_DEP_4) | instskip(NEXT) | instid1(VALU_DEP_1)
	v_cmp_gt_u32_e64 s0, s3, v2
	s_and_saveexec_b32 s2, s0
	s_cbranch_execz .LBB35_445
; %bb.444:
	v_lshlrev_b32_e32 v5, 2, v0
	s_abs_i32 s6, s19
	v_add_nc_u32_e32 v2, s7, v2
	s_sub_i32 s8, 0, s6
	global_load_b32 v6, v5, s[4:5] offset:2048
	v_cvt_f32_u32_e32 v5, s6
	v_sub_nc_u32_e32 v10, 0, v2
	s_delay_alu instid0(VALU_DEP_2) | instskip(NEXT) | instid1(VALU_DEP_1)
	v_rcp_iflag_f32_e32 v5, v5
	v_max_i32_e32 v10, v2, v10
	v_ashrrev_i32_e32 v2, 31, v2
	s_waitcnt_depctr 0xfff
	v_mul_f32_e32 v5, 0x4f7ffffe, v5
	s_delay_alu instid0(VALU_DEP_1) | instskip(NEXT) | instid1(VALU_DEP_1)
	v_cvt_u32_f32_e32 v5, v5
	v_mul_lo_u32 v8, s8, v5
	s_delay_alu instid0(VALU_DEP_1) | instskip(NEXT) | instid1(VALU_DEP_1)
	v_mul_hi_u32 v8, v5, v8
	v_add_nc_u32_e32 v5, v5, v8
	s_delay_alu instid0(VALU_DEP_1) | instskip(NEXT) | instid1(VALU_DEP_1)
	v_mul_hi_u32 v5, v10, v5
	v_mul_lo_u32 v5, v5, s6
	s_delay_alu instid0(VALU_DEP_1) | instskip(NEXT) | instid1(VALU_DEP_1)
	v_sub_nc_u32_e32 v5, v10, v5
	v_subrev_nc_u32_e32 v8, s6, v5
	v_cmp_le_u32_e32 vcc_lo, s6, v5
	s_delay_alu instid0(VALU_DEP_2) | instskip(NEXT) | instid1(VALU_DEP_1)
	v_cndmask_b32_e32 v5, v5, v8, vcc_lo
	v_subrev_nc_u32_e32 v8, s6, v5
	v_cmp_le_u32_e32 vcc_lo, s6, v5
	s_delay_alu instid0(VALU_DEP_2) | instskip(NEXT) | instid1(VALU_DEP_1)
	v_cndmask_b32_e32 v5, v5, v8, vcc_lo
	v_xor_b32_e32 v5, v5, v2
	s_delay_alu instid0(VALU_DEP_1) | instskip(NEXT) | instid1(VALU_DEP_1)
	v_sub_nc_u32_e32 v2, v5, v2
	v_cmp_gt_i32_e32 vcc_lo, s18, v2
	v_cndmask_b32_e64 v8, 0, 1, vcc_lo
.LBB35_445:
	s_or_b32 exec_lo, exec_lo, s2
	v_or_b32_e32 v2, 0x300, v0
	v_mov_b32_e32 v5, 0
	s_delay_alu instid0(VALU_DEP_2)
	v_cmp_gt_u32_e32 vcc_lo, s3, v2
	s_and_saveexec_b32 s6, vcc_lo
	s_cbranch_execnz .LBB35_449
; %bb.446:
	s_or_b32 exec_lo, exec_lo, s6
	s_waitcnt vmcnt(0)
	v_mov_b32_e32 v2, v1
	s_and_saveexec_b32 s2, s1
	s_cbranch_execnz .LBB35_450
.LBB35_447:
	s_or_b32 exec_lo, exec_lo, s2
	s_and_saveexec_b32 s1, s0
	s_cbranch_execnz .LBB35_455
.LBB35_448:
	s_or_b32 exec_lo, exec_lo, s1
	s_and_saveexec_b32 s0, vcc_lo
	s_cbranch_execnz .LBB35_460
	s_branch .LBB35_465
.LBB35_449:
	v_lshlrev_b32_e32 v4, 2, v0
	v_add_nc_u32_e32 v2, s7, v2
	global_load_b32 v5, v4, s[4:5] offset:3072
	s_abs_i32 s4, s19
	v_sub_nc_u32_e32 v11, 0, v2
	v_cvt_f32_u32_e32 v4, s4
	s_sub_i32 s2, 0, s4
	s_delay_alu instid0(VALU_DEP_2) | instskip(NEXT) | instid1(VALU_DEP_2)
	v_max_i32_e32 v11, v2, v11
	v_rcp_iflag_f32_e32 v4, v4
	v_ashrrev_i32_e32 v2, 31, v2
	s_waitcnt_depctr 0xfff
	v_mul_f32_e32 v4, 0x4f7ffffe, v4
	s_delay_alu instid0(VALU_DEP_1) | instskip(NEXT) | instid1(VALU_DEP_1)
	v_cvt_u32_f32_e32 v4, v4
	v_mul_lo_u32 v10, s2, v4
	s_delay_alu instid0(VALU_DEP_1) | instskip(NEXT) | instid1(VALU_DEP_1)
	v_mul_hi_u32 v10, v4, v10
	v_add_nc_u32_e32 v4, v4, v10
	s_delay_alu instid0(VALU_DEP_1) | instskip(NEXT) | instid1(VALU_DEP_1)
	v_mul_hi_u32 v4, v11, v4
	v_mul_lo_u32 v4, v4, s4
	s_delay_alu instid0(VALU_DEP_1) | instskip(NEXT) | instid1(VALU_DEP_1)
	v_sub_nc_u32_e32 v4, v11, v4
	v_subrev_nc_u32_e32 v10, s4, v4
	v_cmp_le_u32_e64 s2, s4, v4
	s_delay_alu instid0(VALU_DEP_1) | instskip(NEXT) | instid1(VALU_DEP_1)
	v_cndmask_b32_e64 v4, v4, v10, s2
	v_subrev_nc_u32_e32 v10, s4, v4
	v_cmp_le_u32_e64 s2, s4, v4
	s_delay_alu instid0(VALU_DEP_1) | instskip(NEXT) | instid1(VALU_DEP_1)
	v_cndmask_b32_e64 v4, v4, v10, s2
	v_xor_b32_e32 v4, v4, v2
	s_delay_alu instid0(VALU_DEP_1) | instskip(NEXT) | instid1(VALU_DEP_1)
	v_sub_nc_u32_e32 v2, v4, v2
	v_cmp_gt_i32_e64 s2, s18, v2
	s_delay_alu instid0(VALU_DEP_1)
	v_cndmask_b32_e64 v4, 0, 1, s2
	s_or_b32 exec_lo, exec_lo, s6
	s_waitcnt vmcnt(1)
	v_mov_b32_e32 v2, v1
	s_and_saveexec_b32 s2, s1
	s_cbranch_execz .LBB35_447
.LBB35_450:
	v_and_b32_e32 v2, 1, v7
	s_delay_alu instid0(VALU_DEP_1) | instskip(SKIP_1) | instid1(VALU_DEP_2)
	v_cmp_eq_u32_e64 s1, 1, v2
	v_mov_b32_e32 v2, v3
	s_and_saveexec_b32 s4, s1
	s_cbranch_execz .LBB35_454
; %bb.451:
	v_and_b32_e32 v2, 1, v9
	s_delay_alu instid0(VALU_DEP_1) | instskip(SKIP_1) | instid1(VALU_DEP_2)
	v_cmp_eq_u32_e64 s1, 1, v2
	v_mov_b32_e32 v2, v1
	s_and_saveexec_b32 s5, s1
; %bb.452:
	v_cmp_lt_f32_e64 s1, v1, v3
	v_mov_b32_e32 v7, 1
	s_delay_alu instid0(VALU_DEP_2) | instskip(SKIP_1) | instid1(VALU_DEP_1)
	v_cndmask_b32_e64 v9, v1, v3, s1
	v_cmp_lt_f32_e64 s1, v3, v1
	v_cndmask_b32_e64 v2, v1, v3, s1
	s_delay_alu instid0(VALU_DEP_3)
	v_mov_b32_e32 v1, v9
; %bb.453:
	s_or_b32 exec_lo, exec_lo, s5
	s_delay_alu instid0(VALU_DEP_1)
	v_mov_b32_e32 v3, v1
	v_mov_b32_e32 v9, v7
.LBB35_454:
	s_or_b32 exec_lo, exec_lo, s4
	s_delay_alu instid0(VALU_DEP_1) | instskip(NEXT) | instid1(VALU_DEP_3)
	v_mov_b32_e32 v7, v9
	v_dual_mov_b32 v1, v2 :: v_dual_mov_b32 v2, v3
	s_or_b32 exec_lo, exec_lo, s2
	s_and_saveexec_b32 s1, s0
	s_cbranch_execz .LBB35_448
.LBB35_455:
	v_and_b32_e32 v3, 1, v7
	s_delay_alu instid0(VALU_DEP_1) | instskip(SKIP_1) | instid1(VALU_DEP_2)
	v_cmp_eq_u32_e64 s0, 1, v3
	v_mov_b32_e32 v3, v6
	s_and_saveexec_b32 s2, s0
	s_cbranch_execz .LBB35_459
; %bb.456:
	v_and_b32_e32 v3, 1, v8
	s_mov_b32 s4, exec_lo
	s_delay_alu instid0(VALU_DEP_1)
	v_cmpx_eq_u32_e32 1, v3
; %bb.457:
	v_cmp_lt_f32_e64 s0, v2, v6
	v_mov_b32_e32 v7, 1
	s_delay_alu instid0(VALU_DEP_2) | instskip(SKIP_1) | instid1(VALU_DEP_1)
	v_cndmask_b32_e64 v2, v2, v6, s0
	v_cmp_lt_f32_e64 s0, v6, v1
	v_cndmask_b32_e64 v1, v1, v6, s0
; %bb.458:
	s_or_b32 exec_lo, exec_lo, s4
	s_delay_alu instid0(VALU_DEP_1)
	v_dual_mov_b32 v6, v2 :: v_dual_mov_b32 v3, v1
	v_mov_b32_e32 v8, v7
.LBB35_459:
	s_or_b32 exec_lo, exec_lo, s2
	s_delay_alu instid0(VALU_DEP_1) | instskip(NEXT) | instid1(VALU_DEP_2)
	v_dual_mov_b32 v7, v8 :: v_dual_mov_b32 v2, v6
	v_mov_b32_e32 v1, v3
	s_or_b32 exec_lo, exec_lo, s1
	s_and_saveexec_b32 s0, vcc_lo
	s_cbranch_execz .LBB35_465
.LBB35_460:
	v_and_b32_e32 v3, 1, v7
	s_delay_alu instid0(VALU_DEP_1)
	v_cmp_eq_u32_e32 vcc_lo, 1, v3
	s_waitcnt vmcnt(0)
	v_mov_b32_e32 v3, v5
	s_and_saveexec_b32 s1, vcc_lo
	s_cbranch_execz .LBB35_464
; %bb.461:
	v_and_b32_e32 v3, 1, v4
	s_mov_b32 s2, exec_lo
	s_delay_alu instid0(VALU_DEP_1)
	v_cmpx_eq_u32_e32 1, v3
; %bb.462:
	v_cmp_lt_f32_e32 vcc_lo, v2, v5
	v_dual_mov_b32 v7, 1 :: v_dual_cndmask_b32 v2, v2, v5
	v_cmp_lt_f32_e32 vcc_lo, v5, v1
	v_cndmask_b32_e32 v1, v1, v5, vcc_lo
; %bb.463:
	s_or_b32 exec_lo, exec_lo, s2
	s_delay_alu instid0(VALU_DEP_3) | instskip(NEXT) | instid1(VALU_DEP_2)
	v_dual_mov_b32 v5, v2 :: v_dual_mov_b32 v4, v7
	v_mov_b32_e32 v3, v1
.LBB35_464:
	s_or_b32 exec_lo, exec_lo, s1
	s_delay_alu instid0(VALU_DEP_2) | instskip(NEXT) | instid1(VALU_DEP_2)
	v_dual_mov_b32 v7, v4 :: v_dual_mov_b32 v2, v5
	v_mov_b32_e32 v1, v3
.LBB35_465:
	s_or_b32 exec_lo, exec_lo, s0
	v_mbcnt_lo_u32_b32 v3, -1, 0
	s_delay_alu instid0(VALU_DEP_3) | instskip(SKIP_1) | instid1(VALU_DEP_2)
	v_and_b32_e32 v6, 0xffff, v7
	s_min_u32 s0, s3, 0x100
	v_cmp_ne_u32_e32 vcc_lo, 31, v3
	s_waitcnt vmcnt(0)
	v_add_nc_u32_e32 v5, 1, v3
	v_add_co_ci_u32_e32 v4, vcc_lo, 0, v3, vcc_lo
	s_delay_alu instid0(VALU_DEP_1) | instskip(SKIP_4) | instid1(VALU_DEP_1)
	v_lshlrev_b32_e32 v4, 2, v4
	ds_bpermute_b32 v10, v4, v6
	ds_bpermute_b32 v8, v4, v1
	;; [unrolled: 1-line block ×3, first 2 shown]
	v_and_b32_e32 v4, 0xe0, v0
	v_sub_nc_u32_e64 v4, s0, v4 clamp
	s_delay_alu instid0(VALU_DEP_1) | instskip(SKIP_2) | instid1(SALU_CYCLE_1)
	v_cmp_lt_u32_e32 vcc_lo, v5, v4
	v_mov_b32_e32 v5, v6
	s_and_saveexec_b32 s1, vcc_lo
	s_xor_b32 s1, exec_lo, s1
	s_cbranch_execz .LBB35_471
; %bb.466:
	v_and_b32_e32 v5, 1, v7
	s_mov_b32 s2, exec_lo
	s_delay_alu instid0(VALU_DEP_1)
	v_cmpx_eq_u32_e32 1, v5
	s_cbranch_execz .LBB35_470
; %bb.467:
	s_waitcnt lgkmcnt(2)
	v_and_b32_e32 v5, 1, v10
	s_mov_b32 s3, exec_lo
	s_delay_alu instid0(VALU_DEP_1)
	v_cmpx_eq_u32_e32 1, v5
	s_cbranch_execz .LBB35_469
; %bb.468:
	s_waitcnt lgkmcnt(1)
	v_cmp_gt_f32_e32 vcc_lo, v1, v8
	v_dual_mov_b32 v6, 1 :: v_dual_cndmask_b32 v1, v1, v8
	s_waitcnt lgkmcnt(0)
	v_cmp_lt_f32_e32 vcc_lo, v2, v9
	v_cndmask_b32_e32 v2, v2, v9, vcc_lo
.LBB35_469:
	s_or_b32 exec_lo, exec_lo, s3
	v_mov_b32_e32 v10, v6
	s_waitcnt lgkmcnt(0)
	s_delay_alu instid0(VALU_DEP_2)
	v_dual_mov_b32 v8, v1 :: v_dual_mov_b32 v9, v2
.LBB35_470:
	s_or_b32 exec_lo, exec_lo, s2
	s_waitcnt lgkmcnt(0)
	s_delay_alu instid0(VALU_DEP_1) | instskip(NEXT) | instid1(VALU_DEP_2)
	v_dual_mov_b32 v2, v9 :: v_dual_and_b32 v5, 0xff, v10
	v_dual_mov_b32 v1, v8 :: v_dual_mov_b32 v6, v10
.LBB35_471:
	s_or_b32 exec_lo, exec_lo, s1
	v_cmp_gt_u32_e32 vcc_lo, 30, v3
	s_waitcnt lgkmcnt(2)
	v_add_nc_u32_e32 v10, 2, v3
	s_mov_b32 s1, exec_lo
	v_cndmask_b32_e64 v7, 0, 1, vcc_lo
	s_delay_alu instid0(VALU_DEP_1) | instskip(NEXT) | instid1(VALU_DEP_1)
	v_lshlrev_b32_e32 v7, 1, v7
	v_add_lshl_u32 v7, v7, v3, 2
	s_waitcnt lgkmcnt(0)
	ds_bpermute_b32 v9, v7, v5
	ds_bpermute_b32 v8, v7, v1
	ds_bpermute_b32 v7, v7, v2
	v_cmpx_lt_u32_e64 v10, v4
	s_cbranch_execz .LBB35_477
; %bb.472:
	v_and_b32_e32 v5, 1, v6
	s_mov_b32 s2, exec_lo
	s_delay_alu instid0(VALU_DEP_1)
	v_cmpx_eq_u32_e32 1, v5
	s_cbranch_execz .LBB35_476
; %bb.473:
	s_waitcnt lgkmcnt(2)
	v_and_b32_e32 v5, 1, v9
	s_mov_b32 s3, exec_lo
	s_delay_alu instid0(VALU_DEP_1)
	v_cmpx_eq_u32_e32 1, v5
	s_cbranch_execz .LBB35_475
; %bb.474:
	s_waitcnt lgkmcnt(1)
	v_cmp_gt_f32_e32 vcc_lo, v1, v8
	v_dual_mov_b32 v6, 1 :: v_dual_cndmask_b32 v1, v1, v8
	s_waitcnt lgkmcnt(0)
	v_cmp_lt_f32_e32 vcc_lo, v2, v7
	v_cndmask_b32_e32 v2, v2, v7, vcc_lo
.LBB35_475:
	s_or_b32 exec_lo, exec_lo, s3
	s_waitcnt lgkmcnt(1)
	v_dual_mov_b32 v9, v6 :: v_dual_mov_b32 v8, v1
	s_waitcnt lgkmcnt(0)
	v_mov_b32_e32 v7, v2
.LBB35_476:
	s_or_b32 exec_lo, exec_lo, s2
	s_waitcnt lgkmcnt(0)
	s_delay_alu instid0(VALU_DEP_1)
	v_dual_mov_b32 v2, v7 :: v_dual_and_b32 v5, 0xff, v9
	v_dual_mov_b32 v1, v8 :: v_dual_mov_b32 v6, v9
.LBB35_477:
	s_or_b32 exec_lo, exec_lo, s1
	v_cmp_gt_u32_e32 vcc_lo, 28, v3
	v_add_nc_u32_e32 v10, 4, v3
	s_mov_b32 s1, exec_lo
	s_waitcnt lgkmcnt(0)
	v_cndmask_b32_e64 v7, 0, 1, vcc_lo
	s_delay_alu instid0(VALU_DEP_1) | instskip(NEXT) | instid1(VALU_DEP_1)
	v_lshlrev_b32_e32 v7, 2, v7
	v_add_lshl_u32 v7, v7, v3, 2
	ds_bpermute_b32 v9, v7, v5
	ds_bpermute_b32 v8, v7, v1
	ds_bpermute_b32 v7, v7, v2
	v_cmpx_lt_u32_e64 v10, v4
	s_cbranch_execz .LBB35_483
; %bb.478:
	v_and_b32_e32 v5, 1, v6
	s_mov_b32 s2, exec_lo
	s_delay_alu instid0(VALU_DEP_1)
	v_cmpx_eq_u32_e32 1, v5
	s_cbranch_execz .LBB35_482
; %bb.479:
	s_waitcnt lgkmcnt(2)
	v_and_b32_e32 v5, 1, v9
	s_mov_b32 s3, exec_lo
	s_delay_alu instid0(VALU_DEP_1)
	v_cmpx_eq_u32_e32 1, v5
	s_cbranch_execz .LBB35_481
; %bb.480:
	s_waitcnt lgkmcnt(1)
	v_cmp_gt_f32_e32 vcc_lo, v1, v8
	v_dual_mov_b32 v6, 1 :: v_dual_cndmask_b32 v1, v1, v8
	s_waitcnt lgkmcnt(0)
	v_cmp_lt_f32_e32 vcc_lo, v2, v7
	v_cndmask_b32_e32 v2, v2, v7, vcc_lo
.LBB35_481:
	s_or_b32 exec_lo, exec_lo, s3
	s_waitcnt lgkmcnt(1)
	v_dual_mov_b32 v9, v6 :: v_dual_mov_b32 v8, v1
	s_waitcnt lgkmcnt(0)
	v_mov_b32_e32 v7, v2
.LBB35_482:
	s_or_b32 exec_lo, exec_lo, s2
	s_waitcnt lgkmcnt(0)
	s_delay_alu instid0(VALU_DEP_1)
	v_dual_mov_b32 v2, v7 :: v_dual_and_b32 v5, 0xff, v9
	v_dual_mov_b32 v1, v8 :: v_dual_mov_b32 v6, v9
.LBB35_483:
	s_or_b32 exec_lo, exec_lo, s1
	v_cmp_gt_u32_e32 vcc_lo, 24, v3
	v_add_nc_u32_e32 v10, 8, v3
	s_mov_b32 s1, exec_lo
	s_waitcnt lgkmcnt(0)
	v_cndmask_b32_e64 v7, 0, 1, vcc_lo
	s_delay_alu instid0(VALU_DEP_1) | instskip(NEXT) | instid1(VALU_DEP_1)
	v_lshlrev_b32_e32 v7, 3, v7
	v_add_lshl_u32 v7, v7, v3, 2
	;; [unrolled: 47-line block ×3, first 2 shown]
	ds_bpermute_b32 v9, v8, v5
	ds_bpermute_b32 v7, v8, v1
	;; [unrolled: 1-line block ×3, first 2 shown]
	v_cmpx_lt_u32_e64 v10, v4
	s_cbranch_execz .LBB35_495
; %bb.490:
	v_and_b32_e32 v4, 1, v6
	s_mov_b32 s2, exec_lo
	s_delay_alu instid0(VALU_DEP_1)
	v_cmpx_eq_u32_e32 1, v4
	s_cbranch_execz .LBB35_494
; %bb.491:
	s_waitcnt lgkmcnt(2)
	v_and_b32_e32 v4, 1, v9
	s_mov_b32 s3, exec_lo
	s_delay_alu instid0(VALU_DEP_1)
	v_cmpx_eq_u32_e32 1, v4
	s_cbranch_execz .LBB35_493
; %bb.492:
	s_waitcnt lgkmcnt(1)
	v_cmp_gt_f32_e32 vcc_lo, v1, v7
	v_dual_mov_b32 v6, 1 :: v_dual_cndmask_b32 v1, v1, v7
	s_waitcnt lgkmcnt(0)
	v_cmp_lt_f32_e32 vcc_lo, v2, v8
	v_cndmask_b32_e32 v2, v2, v8, vcc_lo
.LBB35_493:
	s_or_b32 exec_lo, exec_lo, s3
	v_mov_b32_e32 v9, v6
	s_waitcnt lgkmcnt(0)
	s_delay_alu instid0(VALU_DEP_2)
	v_dual_mov_b32 v7, v1 :: v_dual_mov_b32 v8, v2
.LBB35_494:
	s_or_b32 exec_lo, exec_lo, s2
	s_waitcnt lgkmcnt(2)
	v_dual_mov_b32 v6, v9 :: v_dual_and_b32 v5, 0xff, v9
	s_waitcnt lgkmcnt(0)
	v_dual_mov_b32 v2, v8 :: v_dual_mov_b32 v1, v7
.LBB35_495:
	s_or_b32 exec_lo, exec_lo, s1
	s_delay_alu instid0(SALU_CYCLE_1)
	s_mov_b32 s1, exec_lo
	v_cmpx_eq_u32_e32 0, v3
	s_cbranch_execz .LBB35_497
; %bb.496:
	v_lshrrev_b32_e32 v4, 5, v0
	s_delay_alu instid0(VALU_DEP_1)
	v_mul_u32_u24_e32 v4, 12, v4
	ds_store_b8 v4, v6
	ds_store_2addr_b32 v4, v1, v2 offset0:1 offset1:2
.LBB35_497:
	s_or_b32 exec_lo, exec_lo, s1
	s_delay_alu instid0(SALU_CYCLE_1)
	s_mov_b32 s1, exec_lo
	s_waitcnt lgkmcnt(0)
	s_barrier
	buffer_gl0_inv
	v_cmpx_gt_u32_e32 8, v0
	s_cbranch_execz .LBB35_517
; %bb.498:
	v_mul_u32_u24_e32 v1, 12, v3
	s_add_i32 s0, s0, 31
	ds_load_u8 v4, v1
	ds_load_2addr_b32 v[1:2], v1 offset0:1 offset1:2
	v_and_b32_e32 v6, 7, v3
	s_lshr_b32 s0, s0, 5
	s_delay_alu instid0(VALU_DEP_1) | instskip(SKIP_1) | instid1(VALU_DEP_1)
	v_cmp_ne_u32_e32 vcc_lo, 7, v6
	v_add_co_ci_u32_e32 v5, vcc_lo, 0, v3, vcc_lo
	v_lshlrev_b32_e32 v7, 2, v5
	s_waitcnt lgkmcnt(0)
	v_dual_mov_b32 v8, v2 :: v_dual_and_b32 v5, 0xff, v4
	ds_bpermute_b32 v9, v7, v1
	ds_bpermute_b32 v10, v7, v2
	;; [unrolled: 1-line block ×3, first 2 shown]
	v_add_nc_u32_e32 v7, 1, v6
	s_delay_alu instid0(VALU_DEP_1)
	v_cmp_gt_u32_e32 vcc_lo, s0, v7
	v_mov_b32_e32 v7, v1
	s_and_saveexec_b32 s2, vcc_lo
	s_cbranch_execz .LBB35_504
; %bb.499:
	v_and_b32_e32 v5, 1, v4
	s_mov_b32 s3, exec_lo
	s_delay_alu instid0(VALU_DEP_1)
	v_cmpx_eq_u32_e32 1, v5
	s_cbranch_execz .LBB35_503
; %bb.500:
	s_waitcnt lgkmcnt(0)
	v_and_b32_e32 v5, 1, v11
	s_mov_b32 s4, exec_lo
	s_delay_alu instid0(VALU_DEP_1)
	v_cmpx_eq_u32_e32 1, v5
; %bb.501:
	v_cmp_gt_f32_e32 vcc_lo, v1, v9
	v_dual_mov_b32 v4, 1 :: v_dual_cndmask_b32 v1, v1, v9
	v_cmp_lt_f32_e32 vcc_lo, v2, v10
	v_cndmask_b32_e32 v2, v2, v10, vcc_lo
; %bb.502:
	s_or_b32 exec_lo, exec_lo, s4
	s_delay_alu instid0(VALU_DEP_1)
	v_dual_mov_b32 v11, v4 :: v_dual_mov_b32 v10, v2
	v_mov_b32_e32 v9, v1
.LBB35_503:
	s_or_b32 exec_lo, exec_lo, s3
	s_waitcnt lgkmcnt(0)
	s_delay_alu instid0(VALU_DEP_2) | instskip(NEXT) | instid1(VALU_DEP_2)
	v_dual_mov_b32 v8, v10 :: v_dual_and_b32 v5, 0xff, v11
	v_dual_mov_b32 v7, v9 :: v_dual_mov_b32 v4, v11
	v_dual_mov_b32 v2, v10 :: v_dual_mov_b32 v1, v9
.LBB35_504:
	s_or_b32 exec_lo, exec_lo, s2
	v_cmp_gt_u32_e32 vcc_lo, 6, v6
	v_add_nc_u32_e32 v12, 2, v6
	s_mov_b32 s2, exec_lo
	s_waitcnt lgkmcnt(2)
	v_cndmask_b32_e64 v9, 0, 1, vcc_lo
	s_delay_alu instid0(VALU_DEP_1) | instskip(SKIP_1) | instid1(VALU_DEP_1)
	v_lshlrev_b32_e32 v9, 1, v9
	s_waitcnt lgkmcnt(1)
	v_add_lshl_u32 v10, v9, v3, 2
	s_waitcnt lgkmcnt(0)
	ds_bpermute_b32 v11, v10, v5
	ds_bpermute_b32 v9, v10, v7
	;; [unrolled: 1-line block ×3, first 2 shown]
	v_cmpx_gt_u32_e64 s0, v12
	s_cbranch_execz .LBB35_510
; %bb.505:
	v_and_b32_e32 v5, 1, v4
	s_mov_b32 s3, exec_lo
	s_delay_alu instid0(VALU_DEP_1)
	v_cmpx_eq_u32_e32 1, v5
	s_cbranch_execz .LBB35_509
; %bb.506:
	s_waitcnt lgkmcnt(2)
	v_and_b32_e32 v5, 1, v11
	s_mov_b32 s4, exec_lo
	s_delay_alu instid0(VALU_DEP_1)
	v_cmpx_eq_u32_e32 1, v5
	s_cbranch_execz .LBB35_508
; %bb.507:
	s_waitcnt lgkmcnt(1)
	v_cmp_gt_f32_e32 vcc_lo, v1, v9
	v_dual_mov_b32 v4, 1 :: v_dual_cndmask_b32 v1, v1, v9
	s_waitcnt lgkmcnt(0)
	v_cmp_lt_f32_e32 vcc_lo, v2, v10
	v_cndmask_b32_e32 v2, v2, v10, vcc_lo
.LBB35_508:
	s_or_b32 exec_lo, exec_lo, s4
	s_waitcnt lgkmcnt(0)
	s_delay_alu instid0(VALU_DEP_1)
	v_dual_mov_b32 v11, v4 :: v_dual_mov_b32 v10, v2
	v_mov_b32_e32 v9, v1
.LBB35_509:
	s_or_b32 exec_lo, exec_lo, s3
	s_waitcnt lgkmcnt(0)
	s_delay_alu instid0(VALU_DEP_2) | instskip(NEXT) | instid1(VALU_DEP_2)
	v_dual_mov_b32 v8, v10 :: v_dual_and_b32 v5, 0xff, v11
	v_dual_mov_b32 v7, v9 :: v_dual_mov_b32 v4, v11
	v_dual_mov_b32 v2, v10 :: v_dual_mov_b32 v1, v9
.LBB35_510:
	s_or_b32 exec_lo, exec_lo, s2
	v_cmp_gt_u32_e32 vcc_lo, 4, v6
	v_add_nc_u32_e32 v6, 4, v6
	s_waitcnt lgkmcnt(1)
	v_cndmask_b32_e64 v9, 0, 1, vcc_lo
	s_delay_alu instid0(VALU_DEP_2) | instskip(NEXT) | instid1(VALU_DEP_2)
	v_cmp_gt_u32_e32 vcc_lo, s0, v6
	v_lshlrev_b32_e32 v9, 2, v9
	s_waitcnt lgkmcnt(0)
	s_delay_alu instid0(VALU_DEP_1)
	v_add_lshl_u32 v10, v9, v3, 2
	ds_bpermute_b32 v9, v10, v5
	ds_bpermute_b32 v3, v10, v7
	;; [unrolled: 1-line block ×3, first 2 shown]
	s_and_saveexec_b32 s0, vcc_lo
	s_cbranch_execz .LBB35_516
; %bb.511:
	v_and_b32_e32 v5, 1, v4
	s_mov_b32 s2, exec_lo
	s_delay_alu instid0(VALU_DEP_1)
	v_cmpx_eq_u32_e32 1, v5
	s_cbranch_execz .LBB35_515
; %bb.512:
	s_waitcnt lgkmcnt(2)
	v_and_b32_e32 v5, 1, v9
	s_mov_b32 s3, exec_lo
	s_delay_alu instid0(VALU_DEP_1)
	v_cmpx_eq_u32_e32 1, v5
	s_cbranch_execz .LBB35_514
; %bb.513:
	s_waitcnt lgkmcnt(1)
	v_cmp_gt_f32_e32 vcc_lo, v1, v3
	v_dual_mov_b32 v4, 1 :: v_dual_cndmask_b32 v1, v1, v3
	s_waitcnt lgkmcnt(0)
	v_cmp_lt_f32_e32 vcc_lo, v2, v7
	v_cndmask_b32_e32 v2, v2, v7, vcc_lo
.LBB35_514:
	s_or_b32 exec_lo, exec_lo, s3
	v_mov_b32_e32 v9, v4
	s_waitcnt lgkmcnt(1)
	v_mov_b32_e32 v3, v1
	s_waitcnt lgkmcnt(0)
	v_mov_b32_e32 v7, v2
.LBB35_515:
	s_or_b32 exec_lo, exec_lo, s2
	s_waitcnt lgkmcnt(0)
	s_delay_alu instid0(VALU_DEP_1)
	v_dual_mov_b32 v2, v7 :: v_dual_and_b32 v5, 0xff, v9
	v_mov_b32_e32 v1, v3
.LBB35_516:
	s_or_b32 exec_lo, exec_lo, s0
.LBB35_517:
	s_delay_alu instid0(SALU_CYCLE_1)
	s_or_b32 exec_lo, exec_lo, s1
.LBB35_518:
                                        ; implicit-def: $vgpr4
                                        ; implicit-def: $vgpr6
	s_delay_alu instid0(SALU_CYCLE_1)
	s_mov_b32 s0, exec_lo
	v_cmpx_eq_u32_e32 0, v0
	s_xor_b32 s2, exec_lo, s0
	s_cbranch_execz .LBB35_524
; %bb.519:
	s_waitcnt lgkmcnt(1)
	v_dual_mov_b32 v4, s27 :: v_dual_mov_b32 v3, s26
	v_mov_b32_e32 v6, s30
	s_cmp_eq_u64 s[20:21], 0
	s_cbranch_scc1 .LBB35_523
; %bb.520:
	s_bitcmp0_b32 s30, 0
	s_cbranch_scc1 .LBB35_522
; %bb.521:
	v_and_b32_e32 v3, 1, v5
	v_cmp_gt_f32_e32 vcc_lo, s26, v1
	s_waitcnt lgkmcnt(0)
	v_cmp_lt_f32_e64 s1, s27, v2
	s_delay_alu instid0(VALU_DEP_3) | instskip(NEXT) | instid1(VALU_DEP_1)
	v_cmp_eq_u32_e64 s0, 1, v3
	s_and_b32 vcc_lo, s0, vcc_lo
	v_cndmask_b32_e64 v5, s30, 1, s0
	v_cndmask_b32_e32 v1, s26, v1, vcc_lo
	s_and_b32 vcc_lo, s0, s1
	v_cndmask_b32_e32 v2, s27, v2, vcc_lo
.LBB35_522:
	s_waitcnt lgkmcnt(0)
	s_delay_alu instid0(VALU_DEP_1)
	v_dual_mov_b32 v4, v2 :: v_dual_mov_b32 v3, v1
	v_mov_b32_e32 v6, v5
.LBB35_523:
	s_or_b32 s10, s10, exec_lo
.LBB35_524:
	s_or_b32 exec_lo, exec_lo, s2
	s_branch .LBB35_680
.LBB35_525:
	s_cmp_gt_i32 s28, 1
	s_cbranch_scc0 .LBB35_567
; %bb.526:
	s_cmp_eq_u32 s28, 2
	s_cbranch_scc0 .LBB35_568
; %bb.527:
	s_mov_b32 s25, 0
	s_lshl_b32 s4, s24, 9
	s_mov_b32 s5, s25
	s_lshr_b64 s[0:1], s[20:21], 9
	s_lshl_b64 s[2:3], s[4:5], 2
	s_add_i32 s5, s29, s4
	s_add_u32 s2, s16, s2
	s_addc_u32 s3, s17, s3
	s_cmp_lg_u64 s[0:1], s[24:25]
	s_cbranch_scc0 .LBB35_569
; %bb.528:
	s_abs_i32 s0, s19
	v_add_nc_u32_e32 v5, s5, v0
	s_waitcnt lgkmcnt(0)
	v_cvt_f32_u32_e32 v2, s0
	s_sub_i32 s1, 0, s0
	s_delay_alu instid0(VALU_DEP_2) | instskip(NEXT) | instid1(VALU_DEP_2)
	v_add_nc_u32_e32 v6, 0x100, v5
	v_rcp_iflag_f32_e32 v2, v2
	v_sub_nc_u32_e32 v7, 0, v5
	s_delay_alu instid0(VALU_DEP_2) | instskip(NEXT) | instid1(VALU_DEP_2)
	v_sub_nc_u32_e32 v8, 0, v6
	v_max_i32_e32 v7, v5, v7
	v_ashrrev_i32_e32 v5, 31, v5
	s_waitcnt_depctr 0xfff
	v_mul_f32_e32 v2, 0x4f7ffffe, v2
	s_delay_alu instid0(VALU_DEP_1) | instskip(NEXT) | instid1(VALU_DEP_1)
	v_cvt_u32_f32_e32 v2, v2
	v_mul_lo_u32 v3, s1, v2
	s_delay_alu instid0(VALU_DEP_1) | instskip(NEXT) | instid1(VALU_DEP_1)
	v_mul_hi_u32 v3, v2, v3
	v_add_nc_u32_e32 v2, v2, v3
	v_max_i32_e32 v3, v6, v8
	s_delay_alu instid0(VALU_DEP_2) | instskip(NEXT) | instid1(VALU_DEP_2)
	v_mul_hi_u32 v8, v7, v2
	v_mul_hi_u32 v2, v3, v2
	s_delay_alu instid0(VALU_DEP_2) | instskip(NEXT) | instid1(VALU_DEP_2)
	v_mul_lo_u32 v8, v8, s0
	v_mul_lo_u32 v2, v2, s0
	s_delay_alu instid0(VALU_DEP_2) | instskip(NEXT) | instid1(VALU_DEP_2)
	v_sub_nc_u32_e32 v7, v7, v8
	v_sub_nc_u32_e32 v2, v3, v2
	s_delay_alu instid0(VALU_DEP_2) | instskip(SKIP_2) | instid1(VALU_DEP_4)
	v_subrev_nc_u32_e32 v3, s0, v7
	v_cmp_le_u32_e32 vcc_lo, s0, v7
	v_lshlrev_b32_e32 v4, 2, v0
	v_subrev_nc_u32_e32 v8, s0, v2
	s_delay_alu instid0(VALU_DEP_4)
	v_cndmask_b32_e32 v3, v7, v3, vcc_lo
	global_load_b32 v1, v4, s[2:3] offset:1024
	v_cmp_le_u32_e32 vcc_lo, s0, v2
	v_subrev_nc_u32_e32 v7, s0, v3
	v_cndmask_b32_e32 v2, v2, v8, vcc_lo
	v_cmp_le_u32_e32 vcc_lo, s0, v3
	s_delay_alu instid0(VALU_DEP_2) | instskip(NEXT) | instid1(VALU_DEP_4)
	v_subrev_nc_u32_e32 v8, s0, v2
	v_cndmask_b32_e32 v3, v3, v7, vcc_lo
	v_cmp_le_u32_e32 vcc_lo, s0, v2
	v_ashrrev_i32_e32 v6, 31, v6
	s_delay_alu instid0(VALU_DEP_3) | instskip(SKIP_1) | instid1(VALU_DEP_2)
	v_xor_b32_e32 v3, v3, v5
	v_cndmask_b32_e32 v2, v2, v8, vcc_lo
	v_sub_nc_u32_e32 v3, v3, v5
	s_delay_alu instid0(VALU_DEP_2) | instskip(NEXT) | instid1(VALU_DEP_2)
	v_xor_b32_e32 v2, v2, v6
	v_cmp_gt_i32_e64 s0, s18, v3
	s_delay_alu instid0(VALU_DEP_2) | instskip(NEXT) | instid1(VALU_DEP_1)
	v_sub_nc_u32_e32 v2, v2, v6
	v_cmp_gt_i32_e32 vcc_lo, s18, v2
	v_cndmask_b32_e64 v3, 0, 1, vcc_lo
	s_waitcnt vmcnt(0)
	v_mov_b32_e32 v2, v1
	s_and_saveexec_b32 s6, s0
	s_cbranch_execz .LBB35_530
; %bb.529:
	v_add_co_u32 v2, s0, s2, v4
	s_delay_alu instid0(VALU_DEP_1)
	v_add_co_ci_u32_e64 v3, null, s3, 0, s0
	global_load_b32 v2, v[2:3], off
	v_mov_b32_e32 v3, 1
	s_waitcnt vmcnt(0)
	v_cmp_lt_f32_e64 s0, v1, v2
	v_cmp_lt_f32_e64 s1, v2, v1
	s_delay_alu instid0(VALU_DEP_2) | instskip(NEXT) | instid1(VALU_DEP_1)
	s_and_b32 s0, vcc_lo, s0
	s_and_b32 vcc_lo, vcc_lo, s1
	v_cndmask_b32_e64 v4, v2, v1, s0
	s_delay_alu instid0(VALU_DEP_1)
	v_dual_cndmask_b32 v2, v2, v1 :: v_dual_mov_b32 v1, v4
.LBB35_530:
	s_or_b32 exec_lo, exec_lo, s6
	v_and_b32_e32 v4, 0xffff, v3
	s_delay_alu instid0(VALU_DEP_2) | instskip(SKIP_1) | instid1(VALU_DEP_2)
	v_mov_b32_dpp v5, v1 quad_perm:[1,0,3,2] row_mask:0xf bank_mask:0xf
	s_mov_b32 s0, exec_lo
	v_mov_b32_dpp v6, v4 quad_perm:[1,0,3,2] row_mask:0xf bank_mask:0xf
	v_mov_b32_dpp v4, v2 quad_perm:[1,0,3,2] row_mask:0xf bank_mask:0xf
	s_delay_alu instid0(VALU_DEP_2) | instskip(NEXT) | instid1(VALU_DEP_1)
	v_and_b32_e32 v7, 1, v6
	v_cmpx_eq_u32_e32 1, v7
	s_cbranch_execz .LBB35_534
; %bb.531:
	v_and_b32_e32 v3, 1, v3
	s_mov_b32 s1, exec_lo
	s_delay_alu instid0(VALU_DEP_1)
	v_cmpx_eq_u32_e32 1, v3
; %bb.532:
	v_cmp_gt_f32_e32 vcc_lo, v2, v4
	v_mov_b32_e32 v6, 1
	v_cndmask_b32_e32 v4, v4, v2, vcc_lo
	v_cmp_lt_f32_e32 vcc_lo, v1, v5
	v_cndmask_b32_e32 v5, v5, v1, vcc_lo
; %bb.533:
	s_or_b32 exec_lo, exec_lo, s1
	s_delay_alu instid0(VALU_DEP_3) | instskip(NEXT) | instid1(VALU_DEP_2)
	v_dual_mov_b32 v3, v6 :: v_dual_mov_b32 v2, v4
	v_mov_b32_e32 v1, v5
.LBB35_534:
	s_or_b32 exec_lo, exec_lo, s0
	s_delay_alu instid0(VALU_DEP_2) | instskip(NEXT) | instid1(VALU_DEP_2)
	v_and_b32_e32 v4, 0xff, v3
	v_mov_b32_dpp v5, v1 quad_perm:[2,3,0,1] row_mask:0xf bank_mask:0xf
	s_mov_b32 s0, exec_lo
	s_delay_alu instid0(VALU_DEP_2) | instskip(SKIP_1) | instid1(VALU_DEP_2)
	v_mov_b32_dpp v6, v4 quad_perm:[2,3,0,1] row_mask:0xf bank_mask:0xf
	v_mov_b32_dpp v4, v2 quad_perm:[2,3,0,1] row_mask:0xf bank_mask:0xf
	v_and_b32_e32 v7, 1, v6
	s_delay_alu instid0(VALU_DEP_1)
	v_cmpx_eq_u32_e32 1, v7
	s_cbranch_execz .LBB35_538
; %bb.535:
	v_and_b32_e32 v3, 1, v3
	s_mov_b32 s1, exec_lo
	s_delay_alu instid0(VALU_DEP_1)
	v_cmpx_eq_u32_e32 1, v3
; %bb.536:
	v_cmp_gt_f32_e32 vcc_lo, v2, v4
	v_mov_b32_e32 v6, 1
	v_cndmask_b32_e32 v4, v4, v2, vcc_lo
	v_cmp_lt_f32_e32 vcc_lo, v1, v5
	v_cndmask_b32_e32 v5, v5, v1, vcc_lo
; %bb.537:
	s_or_b32 exec_lo, exec_lo, s1
	s_delay_alu instid0(VALU_DEP_3) | instskip(NEXT) | instid1(VALU_DEP_2)
	v_dual_mov_b32 v3, v6 :: v_dual_mov_b32 v2, v4
	v_mov_b32_e32 v1, v5
.LBB35_538:
	s_or_b32 exec_lo, exec_lo, s0
	s_delay_alu instid0(VALU_DEP_2) | instskip(NEXT) | instid1(VALU_DEP_2)
	v_and_b32_e32 v4, 0xff, v3
	v_mov_b32_dpp v5, v1 row_ror:4 row_mask:0xf bank_mask:0xf
	s_mov_b32 s0, exec_lo
	s_delay_alu instid0(VALU_DEP_2) | instskip(SKIP_1) | instid1(VALU_DEP_2)
	v_mov_b32_dpp v6, v4 row_ror:4 row_mask:0xf bank_mask:0xf
	v_mov_b32_dpp v4, v2 row_ror:4 row_mask:0xf bank_mask:0xf
	v_and_b32_e32 v7, 1, v6
	s_delay_alu instid0(VALU_DEP_1)
	v_cmpx_eq_u32_e32 1, v7
	s_cbranch_execz .LBB35_542
; %bb.539:
	v_and_b32_e32 v3, 1, v3
	s_mov_b32 s1, exec_lo
	s_delay_alu instid0(VALU_DEP_1)
	v_cmpx_eq_u32_e32 1, v3
; %bb.540:
	v_cmp_gt_f32_e32 vcc_lo, v2, v4
	v_mov_b32_e32 v6, 1
	v_cndmask_b32_e32 v4, v4, v2, vcc_lo
	v_cmp_lt_f32_e32 vcc_lo, v1, v5
	v_cndmask_b32_e32 v5, v5, v1, vcc_lo
; %bb.541:
	s_or_b32 exec_lo, exec_lo, s1
	s_delay_alu instid0(VALU_DEP_3) | instskip(NEXT) | instid1(VALU_DEP_2)
	v_dual_mov_b32 v3, v6 :: v_dual_mov_b32 v2, v4
	v_mov_b32_e32 v1, v5
.LBB35_542:
	s_or_b32 exec_lo, exec_lo, s0
	s_delay_alu instid0(VALU_DEP_2) | instskip(NEXT) | instid1(VALU_DEP_2)
	v_and_b32_e32 v4, 0xff, v3
	v_mov_b32_dpp v5, v1 row_ror:8 row_mask:0xf bank_mask:0xf
	s_mov_b32 s0, exec_lo
	s_delay_alu instid0(VALU_DEP_2) | instskip(SKIP_1) | instid1(VALU_DEP_2)
	v_mov_b32_dpp v6, v4 row_ror:8 row_mask:0xf bank_mask:0xf
	v_mov_b32_dpp v4, v2 row_ror:8 row_mask:0xf bank_mask:0xf
	v_and_b32_e32 v7, 1, v6
	s_delay_alu instid0(VALU_DEP_1)
	v_cmpx_eq_u32_e32 1, v7
	s_cbranch_execz .LBB35_546
; %bb.543:
	v_and_b32_e32 v3, 1, v3
	s_mov_b32 s1, exec_lo
	s_delay_alu instid0(VALU_DEP_1)
	v_cmpx_eq_u32_e32 1, v3
; %bb.544:
	v_cmp_gt_f32_e32 vcc_lo, v2, v4
	v_mov_b32_e32 v6, 1
	v_cndmask_b32_e32 v4, v4, v2, vcc_lo
	v_cmp_lt_f32_e32 vcc_lo, v1, v5
	v_cndmask_b32_e32 v5, v5, v1, vcc_lo
; %bb.545:
	s_or_b32 exec_lo, exec_lo, s1
	s_delay_alu instid0(VALU_DEP_3) | instskip(NEXT) | instid1(VALU_DEP_2)
	v_dual_mov_b32 v3, v6 :: v_dual_mov_b32 v2, v4
	v_mov_b32_e32 v1, v5
.LBB35_546:
	s_or_b32 exec_lo, exec_lo, s0
	s_delay_alu instid0(VALU_DEP_2)
	v_and_b32_e32 v4, 0xff, v3
	ds_swizzle_b32 v5, v1 offset:swizzle(BROADCAST,32,15)
	s_mov_b32 s0, exec_lo
	ds_swizzle_b32 v6, v4 offset:swizzle(BROADCAST,32,15)
	ds_swizzle_b32 v4, v2 offset:swizzle(BROADCAST,32,15)
	s_waitcnt lgkmcnt(1)
	v_and_b32_e32 v7, 1, v6
	s_delay_alu instid0(VALU_DEP_1)
	v_cmpx_eq_u32_e32 1, v7
	s_cbranch_execz .LBB35_550
; %bb.547:
	v_and_b32_e32 v3, 1, v3
	s_mov_b32 s1, exec_lo
	s_delay_alu instid0(VALU_DEP_1)
	v_cmpx_eq_u32_e32 1, v3
	s_cbranch_execz .LBB35_549
; %bb.548:
	s_waitcnt lgkmcnt(0)
	v_cmp_gt_f32_e32 vcc_lo, v2, v4
	v_mov_b32_e32 v6, 1
	v_cndmask_b32_e32 v4, v4, v2, vcc_lo
	v_cmp_lt_f32_e32 vcc_lo, v1, v5
	v_cndmask_b32_e32 v5, v5, v1, vcc_lo
.LBB35_549:
	s_or_b32 exec_lo, exec_lo, s1
	s_waitcnt lgkmcnt(0)
	v_dual_mov_b32 v3, v6 :: v_dual_mov_b32 v2, v4
	s_delay_alu instid0(VALU_DEP_2)
	v_mov_b32_e32 v1, v5
.LBB35_550:
	s_or_b32 exec_lo, exec_lo, s0
	s_waitcnt lgkmcnt(0)
	s_delay_alu instid0(VALU_DEP_2)
	v_dual_mov_b32 v4, 0 :: v_dual_and_b32 v3, 0xff, v3
	s_mov_b32 s0, exec_lo
	ds_bpermute_b32 v5, v4, v3 offset:124
	ds_bpermute_b32 v1, v4, v1 offset:124
	ds_bpermute_b32 v2, v4, v2 offset:124
	v_mbcnt_lo_u32_b32 v3, -1, 0
	s_delay_alu instid0(VALU_DEP_1)
	v_cmpx_eq_u32_e32 0, v3
	s_cbranch_execz .LBB35_552
; %bb.551:
	v_lshrrev_b32_e32 v4, 5, v0
	s_delay_alu instid0(VALU_DEP_1)
	v_mul_u32_u24_e32 v4, 12, v4
	s_waitcnt lgkmcnt(2)
	ds_store_b8 v4, v5 offset:288
	s_waitcnt lgkmcnt(1)
	ds_store_2addr_b32 v4, v1, v2 offset0:73 offset1:74
.LBB35_552:
	s_or_b32 exec_lo, exec_lo, s0
	s_delay_alu instid0(SALU_CYCLE_1)
	s_mov_b32 s0, exec_lo
	s_waitcnt lgkmcnt(0)
	s_barrier
	buffer_gl0_inv
	v_cmpx_gt_u32_e32 32, v0
	s_cbranch_execz .LBB35_566
; %bb.553:
	v_and_b32_e32 v4, 7, v3
	s_mov_b32 s1, exec_lo
	s_delay_alu instid0(VALU_DEP_1) | instskip(SKIP_4) | instid1(VALU_DEP_1)
	v_mul_u32_u24_e32 v1, 12, v4
	v_cmp_ne_u32_e32 vcc_lo, 7, v4
	ds_load_u8 v7, v1 offset:288
	ds_load_2addr_b32 v[1:2], v1 offset0:73 offset1:74
	v_add_co_ci_u32_e32 v5, vcc_lo, 0, v3, vcc_lo
	v_lshlrev_b32_e32 v5, 2, v5
	s_waitcnt lgkmcnt(1)
	v_and_b32_e32 v8, 0xff, v7
	s_waitcnt lgkmcnt(0)
	ds_bpermute_b32 v6, v5, v1
	ds_bpermute_b32 v10, v5, v8
	;; [unrolled: 1-line block ×3, first 2 shown]
	v_and_b32_e32 v8, 1, v7
	s_delay_alu instid0(VALU_DEP_1)
	v_cmpx_eq_u32_e32 1, v8
	s_cbranch_execz .LBB35_557
; %bb.554:
	s_waitcnt lgkmcnt(1)
	v_and_b32_e32 v8, 1, v10
	s_mov_b32 s6, exec_lo
	s_delay_alu instid0(VALU_DEP_1)
	v_cmpx_eq_u32_e32 1, v8
	s_cbranch_execz .LBB35_556
; %bb.555:
	v_cmp_gt_f32_e32 vcc_lo, v1, v6
	v_mov_b32_e32 v7, 1
	v_cndmask_b32_e32 v1, v1, v6, vcc_lo
	s_waitcnt lgkmcnt(0)
	v_cmp_lt_f32_e32 vcc_lo, v2, v5
	v_cndmask_b32_e32 v2, v2, v5, vcc_lo
.LBB35_556:
	s_or_b32 exec_lo, exec_lo, s6
	s_waitcnt lgkmcnt(0)
	s_delay_alu instid0(VALU_DEP_1)
	v_dual_mov_b32 v10, v7 :: v_dual_mov_b32 v5, v2
	v_mov_b32_e32 v6, v1
.LBB35_557:
	s_or_b32 exec_lo, exec_lo, s1
	v_cmp_gt_u32_e32 vcc_lo, 6, v4
	s_waitcnt lgkmcnt(1)
	v_and_b32_e32 v2, 0xff, v10
	s_mov_b32 s1, exec_lo
	v_cndmask_b32_e64 v1, 0, 1, vcc_lo
	s_delay_alu instid0(VALU_DEP_1) | instskip(NEXT) | instid1(VALU_DEP_1)
	v_lshlrev_b32_e32 v1, 1, v1
	v_add_lshl_u32 v1, v1, v3, 2
	ds_bpermute_b32 v9, v1, v2
	ds_bpermute_b32 v8, v1, v6
	s_waitcnt lgkmcnt(2)
	ds_bpermute_b32 v7, v1, v5
	v_and_b32_e32 v1, 1, v10
	s_delay_alu instid0(VALU_DEP_1)
	v_cmpx_eq_u32_e32 1, v1
	s_cbranch_execz .LBB35_561
; %bb.558:
	s_waitcnt lgkmcnt(2)
	v_and_b32_e32 v1, 1, v9
	s_mov_b32 s6, exec_lo
	s_delay_alu instid0(VALU_DEP_1)
	v_cmpx_eq_u32_e32 1, v1
	s_cbranch_execz .LBB35_560
; %bb.559:
	s_waitcnt lgkmcnt(1)
	v_cmp_gt_f32_e32 vcc_lo, v6, v8
	v_mov_b32_e32 v10, 1
	v_cndmask_b32_e32 v6, v6, v8, vcc_lo
	s_waitcnt lgkmcnt(0)
	v_cmp_lt_f32_e32 vcc_lo, v5, v7
	v_cndmask_b32_e32 v5, v5, v7, vcc_lo
.LBB35_560:
	s_or_b32 exec_lo, exec_lo, s6
	v_mov_b32_e32 v9, v10
	s_waitcnt lgkmcnt(0)
	s_delay_alu instid0(VALU_DEP_2)
	v_dual_mov_b32 v8, v6 :: v_dual_mov_b32 v7, v5
.LBB35_561:
	s_or_b32 exec_lo, exec_lo, s1
	v_cmp_gt_u32_e32 vcc_lo, 4, v4
	s_waitcnt lgkmcnt(2)
	v_and_b32_e32 v2, 0xff, v9
	s_mov_b32 s1, exec_lo
	v_cndmask_b32_e64 v1, 0, 1, vcc_lo
	s_delay_alu instid0(VALU_DEP_1) | instskip(NEXT) | instid1(VALU_DEP_1)
	v_lshlrev_b32_e32 v1, 2, v1
	v_add_lshl_u32 v4, v1, v3, 2
	ds_bpermute_b32 v3, v4, v2
	s_waitcnt lgkmcnt(2)
	ds_bpermute_b32 v1, v4, v8
	s_waitcnt lgkmcnt(2)
	ds_bpermute_b32 v2, v4, v7
	v_and_b32_e32 v4, 1, v9
	s_delay_alu instid0(VALU_DEP_1)
	v_cmpx_eq_u32_e32 1, v4
	s_cbranch_execz .LBB35_565
; %bb.562:
	s_waitcnt lgkmcnt(2)
	v_and_b32_e32 v3, 1, v3
	s_mov_b32 s6, exec_lo
	s_delay_alu instid0(VALU_DEP_1)
	v_cmpx_eq_u32_e32 1, v3
	s_cbranch_execz .LBB35_564
; %bb.563:
	s_waitcnt lgkmcnt(1)
	v_cmp_gt_f32_e32 vcc_lo, v8, v1
	v_dual_mov_b32 v9, 1 :: v_dual_cndmask_b32 v8, v8, v1
	s_waitcnt lgkmcnt(0)
	v_cmp_lt_f32_e32 vcc_lo, v7, v2
	v_cndmask_b32_e32 v7, v7, v2, vcc_lo
.LBB35_564:
	s_or_b32 exec_lo, exec_lo, s6
	s_waitcnt lgkmcnt(0)
	s_delay_alu instid0(VALU_DEP_1)
	v_dual_mov_b32 v3, v9 :: v_dual_mov_b32 v2, v7
	v_mov_b32_e32 v1, v8
.LBB35_565:
	s_or_b32 exec_lo, exec_lo, s1
	s_waitcnt lgkmcnt(2)
	s_delay_alu instid0(VALU_DEP_2)
	v_and_b32_e32 v5, 0xff, v3
.LBB35_566:
	s_or_b32 exec_lo, exec_lo, s0
	s_branch .LBB35_633
.LBB35_567:
                                        ; implicit-def: $vgpr4
                                        ; implicit-def: $vgpr6
	s_cbranch_execnz .LBB35_640
	s_branch .LBB35_680
.LBB35_568:
                                        ; implicit-def: $vgpr4
                                        ; implicit-def: $vgpr6
	s_branch .LBB35_680
.LBB35_569:
                                        ; implicit-def: $vgpr2
                                        ; implicit-def: $vgpr5
	s_cbranch_execz .LBB35_633
; %bb.570:
	s_waitcnt lgkmcnt(1)
	v_dual_mov_b32 v1, 0 :: v_dual_mov_b32 v4, 0
	v_mov_b32_e32 v3, 0
	s_sub_i32 s1, s20, s4
	s_mov_b32 s0, exec_lo
	v_cmpx_gt_u32_e64 s1, v0
	s_cbranch_execz .LBB35_572
; %bb.571:
	s_abs_i32 s4, s19
	v_add_nc_u32_e32 v5, s5, v0
	s_waitcnt lgkmcnt(0)
	v_cvt_f32_u32_e32 v2, s4
	s_sub_i32 s6, 0, s4
	s_delay_alu instid0(VALU_DEP_2) | instskip(NEXT) | instid1(VALU_DEP_2)
	v_sub_nc_u32_e32 v6, 0, v5
	v_rcp_iflag_f32_e32 v2, v2
	v_lshlrev_b32_e32 v1, 2, v0
	s_delay_alu instid0(VALU_DEP_2)
	v_max_i32_e32 v6, v5, v6
	v_ashrrev_i32_e32 v5, 31, v5
	s_waitcnt_depctr 0xfff
	v_mul_f32_e32 v2, 0x4f7ffffe, v2
	global_load_b32 v1, v1, s[2:3]
	v_cvt_u32_f32_e32 v2, v2
	s_delay_alu instid0(VALU_DEP_1) | instskip(NEXT) | instid1(VALU_DEP_1)
	v_mul_lo_u32 v4, s6, v2
	v_mul_hi_u32 v4, v2, v4
	s_delay_alu instid0(VALU_DEP_1) | instskip(NEXT) | instid1(VALU_DEP_1)
	v_add_nc_u32_e32 v2, v2, v4
	v_mul_hi_u32 v2, v6, v2
	s_delay_alu instid0(VALU_DEP_1) | instskip(NEXT) | instid1(VALU_DEP_1)
	v_mul_lo_u32 v2, v2, s4
	v_sub_nc_u32_e32 v2, v6, v2
	s_delay_alu instid0(VALU_DEP_1) | instskip(SKIP_1) | instid1(VALU_DEP_2)
	v_subrev_nc_u32_e32 v4, s4, v2
	v_cmp_le_u32_e32 vcc_lo, s4, v2
	v_cndmask_b32_e32 v2, v2, v4, vcc_lo
	s_delay_alu instid0(VALU_DEP_1) | instskip(SKIP_1) | instid1(VALU_DEP_2)
	v_subrev_nc_u32_e32 v4, s4, v2
	v_cmp_le_u32_e32 vcc_lo, s4, v2
	v_cndmask_b32_e32 v2, v2, v4, vcc_lo
	s_delay_alu instid0(VALU_DEP_1) | instskip(NEXT) | instid1(VALU_DEP_1)
	v_xor_b32_e32 v2, v2, v5
	v_sub_nc_u32_e32 v2, v2, v5
	s_delay_alu instid0(VALU_DEP_1)
	v_cmp_gt_i32_e32 vcc_lo, s18, v2
	v_cndmask_b32_e64 v4, 0, 1, vcc_lo
.LBB35_572:
	s_or_b32 exec_lo, exec_lo, s0
	s_waitcnt lgkmcnt(0)
	v_or_b32_e32 v2, 0x100, v0
	v_mov_b32_e32 v5, 0
	s_delay_alu instid0(VALU_DEP_2)
	v_cmp_gt_u32_e32 vcc_lo, s1, v2
	s_and_saveexec_b32 s4, vcc_lo
	s_cbranch_execz .LBB35_574
; %bb.573:
	v_lshlrev_b32_e32 v3, 2, v0
	v_add_nc_u32_e32 v2, s5, v2
	global_load_b32 v3, v3, s[2:3] offset:1024
	s_abs_i32 s2, s19
	v_sub_nc_u32_e32 v7, 0, v2
	v_cvt_f32_u32_e32 v5, s2
	s_sub_i32 s0, 0, s2
	s_delay_alu instid0(VALU_DEP_2) | instskip(NEXT) | instid1(VALU_DEP_2)
	v_max_i32_e32 v7, v2, v7
	v_rcp_iflag_f32_e32 v5, v5
	v_ashrrev_i32_e32 v2, 31, v2
	s_waitcnt_depctr 0xfff
	v_mul_f32_e32 v5, 0x4f7ffffe, v5
	s_delay_alu instid0(VALU_DEP_1) | instskip(NEXT) | instid1(VALU_DEP_1)
	v_cvt_u32_f32_e32 v5, v5
	v_mul_lo_u32 v6, s0, v5
	s_delay_alu instid0(VALU_DEP_1) | instskip(NEXT) | instid1(VALU_DEP_1)
	v_mul_hi_u32 v6, v5, v6
	v_add_nc_u32_e32 v5, v5, v6
	s_delay_alu instid0(VALU_DEP_1) | instskip(NEXT) | instid1(VALU_DEP_1)
	v_mul_hi_u32 v5, v7, v5
	v_mul_lo_u32 v5, v5, s2
	s_delay_alu instid0(VALU_DEP_1) | instskip(NEXT) | instid1(VALU_DEP_1)
	v_sub_nc_u32_e32 v5, v7, v5
	v_subrev_nc_u32_e32 v6, s2, v5
	v_cmp_le_u32_e64 s0, s2, v5
	s_delay_alu instid0(VALU_DEP_1) | instskip(NEXT) | instid1(VALU_DEP_1)
	v_cndmask_b32_e64 v5, v5, v6, s0
	v_subrev_nc_u32_e32 v6, s2, v5
	v_cmp_le_u32_e64 s0, s2, v5
	s_delay_alu instid0(VALU_DEP_1) | instskip(NEXT) | instid1(VALU_DEP_1)
	v_cndmask_b32_e64 v5, v5, v6, s0
	v_xor_b32_e32 v5, v5, v2
	s_delay_alu instid0(VALU_DEP_1) | instskip(NEXT) | instid1(VALU_DEP_1)
	v_sub_nc_u32_e32 v2, v5, v2
	v_cmp_gt_i32_e64 s0, s18, v2
	s_delay_alu instid0(VALU_DEP_1)
	v_cndmask_b32_e64 v5, 0, 1, s0
.LBB35_574:
	s_or_b32 exec_lo, exec_lo, s4
	s_waitcnt vmcnt(0)
	v_mov_b32_e32 v2, v1
	s_and_saveexec_b32 s0, vcc_lo
	s_cbranch_execz .LBB35_580
; %bb.575:
	v_and_b32_e32 v2, 1, v4
	s_delay_alu instid0(VALU_DEP_1)
	v_cmp_eq_u32_e32 vcc_lo, 1, v2
	v_mov_b32_e32 v2, v3
	s_and_saveexec_b32 s2, vcc_lo
	s_cbranch_execz .LBB35_579
; %bb.576:
	v_and_b32_e32 v2, 1, v5
	s_delay_alu instid0(VALU_DEP_1)
	v_cmp_eq_u32_e32 vcc_lo, 1, v2
	v_mov_b32_e32 v2, v1
	s_and_saveexec_b32 s3, vcc_lo
; %bb.577:
	v_cmp_lt_f32_e32 vcc_lo, v1, v3
	v_dual_mov_b32 v4, 1 :: v_dual_cndmask_b32 v5, v1, v3
	v_cmp_lt_f32_e32 vcc_lo, v3, v1
	v_cndmask_b32_e32 v2, v1, v3, vcc_lo
	s_delay_alu instid0(VALU_DEP_3)
	v_mov_b32_e32 v1, v5
; %bb.578:
	s_or_b32 exec_lo, exec_lo, s3
	s_delay_alu instid0(VALU_DEP_1)
	v_mov_b32_e32 v3, v1
	v_mov_b32_e32 v5, v4
.LBB35_579:
	s_or_b32 exec_lo, exec_lo, s2
	s_delay_alu instid0(VALU_DEP_1) | instskip(NEXT) | instid1(VALU_DEP_3)
	v_dual_mov_b32 v4, v5 :: v_dual_mov_b32 v1, v2
	v_mov_b32_e32 v2, v3
.LBB35_580:
	s_or_b32 exec_lo, exec_lo, s0
	v_mbcnt_lo_u32_b32 v3, -1, 0
	s_delay_alu instid0(VALU_DEP_3) | instskip(SKIP_2) | instid1(VALU_DEP_2)
	v_and_b32_e32 v5, 0xffff, v4
	s_min_u32 s0, s1, 0x100
	s_mov_b32 s1, exec_lo
	v_cmp_ne_u32_e32 vcc_lo, 31, v3
	v_add_nc_u32_e32 v10, 1, v3
	v_add_co_ci_u32_e32 v6, vcc_lo, 0, v3, vcc_lo
	s_delay_alu instid0(VALU_DEP_1) | instskip(SKIP_4) | instid1(VALU_DEP_1)
	v_lshlrev_b32_e32 v6, 2, v6
	ds_bpermute_b32 v9, v6, v5
	ds_bpermute_b32 v7, v6, v1
	;; [unrolled: 1-line block ×3, first 2 shown]
	v_and_b32_e32 v6, 0xe0, v0
	v_sub_nc_u32_e64 v6, s0, v6 clamp
	s_delay_alu instid0(VALU_DEP_1)
	v_cmpx_lt_u32_e64 v10, v6
	s_cbranch_execz .LBB35_586
; %bb.581:
	v_and_b32_e32 v5, 1, v4
	s_mov_b32 s2, exec_lo
	s_delay_alu instid0(VALU_DEP_1)
	v_cmpx_eq_u32_e32 1, v5
	s_cbranch_execz .LBB35_585
; %bb.582:
	s_waitcnt lgkmcnt(2)
	v_and_b32_e32 v5, 1, v9
	s_mov_b32 s3, exec_lo
	s_delay_alu instid0(VALU_DEP_1)
	v_cmpx_eq_u32_e32 1, v5
	s_cbranch_execz .LBB35_584
; %bb.583:
	s_waitcnt lgkmcnt(1)
	v_cmp_gt_f32_e32 vcc_lo, v1, v7
	v_dual_mov_b32 v4, 1 :: v_dual_cndmask_b32 v1, v1, v7
	s_waitcnt lgkmcnt(0)
	v_cmp_lt_f32_e32 vcc_lo, v2, v8
	v_cndmask_b32_e32 v2, v2, v8, vcc_lo
.LBB35_584:
	s_or_b32 exec_lo, exec_lo, s3
	s_waitcnt lgkmcnt(0)
	s_delay_alu instid0(VALU_DEP_1)
	v_dual_mov_b32 v9, v4 :: v_dual_mov_b32 v8, v2
	v_mov_b32_e32 v7, v1
.LBB35_585:
	s_or_b32 exec_lo, exec_lo, s2
	s_waitcnt lgkmcnt(0)
	s_delay_alu instid0(VALU_DEP_2) | instskip(NEXT) | instid1(VALU_DEP_2)
	v_dual_mov_b32 v2, v8 :: v_dual_and_b32 v5, 0xff, v9
	v_dual_mov_b32 v1, v7 :: v_dual_mov_b32 v4, v9
.LBB35_586:
	s_or_b32 exec_lo, exec_lo, s1
	v_cmp_gt_u32_e32 vcc_lo, 30, v3
	v_add_nc_u32_e32 v10, 2, v3
	s_mov_b32 s1, exec_lo
	s_waitcnt lgkmcnt(1)
	v_cndmask_b32_e64 v7, 0, 1, vcc_lo
	s_delay_alu instid0(VALU_DEP_1) | instskip(NEXT) | instid1(VALU_DEP_1)
	v_lshlrev_b32_e32 v7, 1, v7
	v_add_lshl_u32 v7, v7, v3, 2
	ds_bpermute_b32 v9, v7, v5
	s_waitcnt lgkmcnt(1)
	ds_bpermute_b32 v8, v7, v1
	ds_bpermute_b32 v7, v7, v2
	v_cmpx_lt_u32_e64 v10, v6
	s_cbranch_execz .LBB35_592
; %bb.587:
	v_and_b32_e32 v5, 1, v4
	s_mov_b32 s2, exec_lo
	s_delay_alu instid0(VALU_DEP_1)
	v_cmpx_eq_u32_e32 1, v5
	s_cbranch_execz .LBB35_591
; %bb.588:
	s_waitcnt lgkmcnt(2)
	v_and_b32_e32 v5, 1, v9
	s_mov_b32 s3, exec_lo
	s_delay_alu instid0(VALU_DEP_1)
	v_cmpx_eq_u32_e32 1, v5
	s_cbranch_execz .LBB35_590
; %bb.589:
	s_waitcnt lgkmcnt(1)
	v_cmp_gt_f32_e32 vcc_lo, v1, v8
	v_dual_mov_b32 v4, 1 :: v_dual_cndmask_b32 v1, v1, v8
	s_waitcnt lgkmcnt(0)
	v_cmp_lt_f32_e32 vcc_lo, v2, v7
	v_cndmask_b32_e32 v2, v2, v7, vcc_lo
.LBB35_590:
	s_or_b32 exec_lo, exec_lo, s3
	s_waitcnt lgkmcnt(1)
	v_dual_mov_b32 v9, v4 :: v_dual_mov_b32 v8, v1
	s_waitcnt lgkmcnt(0)
	v_mov_b32_e32 v7, v2
.LBB35_591:
	s_or_b32 exec_lo, exec_lo, s2
	s_waitcnt lgkmcnt(0)
	s_delay_alu instid0(VALU_DEP_1)
	v_dual_mov_b32 v2, v7 :: v_dual_and_b32 v5, 0xff, v9
	v_dual_mov_b32 v1, v8 :: v_dual_mov_b32 v4, v9
.LBB35_592:
	s_or_b32 exec_lo, exec_lo, s1
	v_cmp_gt_u32_e32 vcc_lo, 28, v3
	v_add_nc_u32_e32 v10, 4, v3
	s_mov_b32 s1, exec_lo
	s_waitcnt lgkmcnt(0)
	v_cndmask_b32_e64 v7, 0, 1, vcc_lo
	s_delay_alu instid0(VALU_DEP_1) | instskip(NEXT) | instid1(VALU_DEP_1)
	v_lshlrev_b32_e32 v7, 2, v7
	v_add_lshl_u32 v7, v7, v3, 2
	ds_bpermute_b32 v9, v7, v5
	ds_bpermute_b32 v8, v7, v1
	ds_bpermute_b32 v7, v7, v2
	v_cmpx_lt_u32_e64 v10, v6
	s_cbranch_execz .LBB35_598
; %bb.593:
	v_and_b32_e32 v5, 1, v4
	s_mov_b32 s2, exec_lo
	s_delay_alu instid0(VALU_DEP_1)
	v_cmpx_eq_u32_e32 1, v5
	s_cbranch_execz .LBB35_597
; %bb.594:
	s_waitcnt lgkmcnt(2)
	v_and_b32_e32 v5, 1, v9
	s_mov_b32 s3, exec_lo
	s_delay_alu instid0(VALU_DEP_1)
	v_cmpx_eq_u32_e32 1, v5
	s_cbranch_execz .LBB35_596
; %bb.595:
	s_waitcnt lgkmcnt(1)
	v_cmp_gt_f32_e32 vcc_lo, v1, v8
	v_dual_mov_b32 v4, 1 :: v_dual_cndmask_b32 v1, v1, v8
	s_waitcnt lgkmcnt(0)
	v_cmp_lt_f32_e32 vcc_lo, v2, v7
	v_cndmask_b32_e32 v2, v2, v7, vcc_lo
.LBB35_596:
	s_or_b32 exec_lo, exec_lo, s3
	s_waitcnt lgkmcnt(1)
	v_dual_mov_b32 v9, v4 :: v_dual_mov_b32 v8, v1
	s_waitcnt lgkmcnt(0)
	v_mov_b32_e32 v7, v2
.LBB35_597:
	s_or_b32 exec_lo, exec_lo, s2
	s_waitcnt lgkmcnt(0)
	s_delay_alu instid0(VALU_DEP_1)
	v_dual_mov_b32 v2, v7 :: v_dual_and_b32 v5, 0xff, v9
	v_dual_mov_b32 v1, v8 :: v_dual_mov_b32 v4, v9
.LBB35_598:
	s_or_b32 exec_lo, exec_lo, s1
	v_cmp_gt_u32_e32 vcc_lo, 24, v3
	v_add_nc_u32_e32 v10, 8, v3
	s_mov_b32 s1, exec_lo
	s_waitcnt lgkmcnt(0)
	v_cndmask_b32_e64 v7, 0, 1, vcc_lo
	s_delay_alu instid0(VALU_DEP_1) | instskip(NEXT) | instid1(VALU_DEP_1)
	v_lshlrev_b32_e32 v7, 3, v7
	v_add_lshl_u32 v7, v7, v3, 2
	ds_bpermute_b32 v9, v7, v5
	ds_bpermute_b32 v8, v7, v1
	ds_bpermute_b32 v7, v7, v2
	v_cmpx_lt_u32_e64 v10, v6
	s_cbranch_execz .LBB35_604
; %bb.599:
	v_and_b32_e32 v5, 1, v4
	s_mov_b32 s2, exec_lo
	s_delay_alu instid0(VALU_DEP_1)
	v_cmpx_eq_u32_e32 1, v5
	s_cbranch_execz .LBB35_603
; %bb.600:
	s_waitcnt lgkmcnt(2)
	v_and_b32_e32 v5, 1, v9
	s_mov_b32 s3, exec_lo
	s_delay_alu instid0(VALU_DEP_1)
	v_cmpx_eq_u32_e32 1, v5
	s_cbranch_execz .LBB35_602
; %bb.601:
	s_waitcnt lgkmcnt(1)
	v_cmp_gt_f32_e32 vcc_lo, v1, v8
	v_dual_mov_b32 v4, 1 :: v_dual_cndmask_b32 v1, v1, v8
	s_waitcnt lgkmcnt(0)
	v_cmp_lt_f32_e32 vcc_lo, v2, v7
	v_cndmask_b32_e32 v2, v2, v7, vcc_lo
.LBB35_602:
	s_or_b32 exec_lo, exec_lo, s3
	s_waitcnt lgkmcnt(1)
	v_dual_mov_b32 v9, v4 :: v_dual_mov_b32 v8, v1
	s_waitcnt lgkmcnt(0)
	v_mov_b32_e32 v7, v2
.LBB35_603:
	s_or_b32 exec_lo, exec_lo, s2
	s_waitcnt lgkmcnt(0)
	s_delay_alu instid0(VALU_DEP_1)
	v_dual_mov_b32 v2, v7 :: v_dual_and_b32 v5, 0xff, v9
	v_dual_mov_b32 v1, v8 :: v_dual_mov_b32 v4, v9
.LBB35_604:
	s_or_b32 exec_lo, exec_lo, s1
	v_cmp_gt_u32_e32 vcc_lo, 16, v3
	v_add_nc_u32_e32 v10, 16, v3
	s_mov_b32 s1, exec_lo
	s_waitcnt lgkmcnt(0)
	v_cndmask_b32_e64 v7, 0, 1, vcc_lo
	s_delay_alu instid0(VALU_DEP_1) | instskip(NEXT) | instid1(VALU_DEP_1)
	v_lshlrev_b32_e32 v7, 4, v7
	v_add_lshl_u32 v8, v7, v3, 2
	ds_bpermute_b32 v9, v8, v5
	ds_bpermute_b32 v7, v8, v1
	ds_bpermute_b32 v8, v8, v2
	v_cmpx_lt_u32_e64 v10, v6
	s_cbranch_execz .LBB35_610
; %bb.605:
	v_and_b32_e32 v5, 1, v4
	s_mov_b32 s2, exec_lo
	s_delay_alu instid0(VALU_DEP_1)
	v_cmpx_eq_u32_e32 1, v5
	s_cbranch_execz .LBB35_609
; %bb.606:
	s_waitcnt lgkmcnt(2)
	v_and_b32_e32 v5, 1, v9
	s_mov_b32 s3, exec_lo
	s_delay_alu instid0(VALU_DEP_1)
	v_cmpx_eq_u32_e32 1, v5
	s_cbranch_execz .LBB35_608
; %bb.607:
	s_waitcnt lgkmcnt(1)
	v_cmp_gt_f32_e32 vcc_lo, v1, v7
	v_dual_mov_b32 v4, 1 :: v_dual_cndmask_b32 v1, v1, v7
	s_waitcnt lgkmcnt(0)
	v_cmp_lt_f32_e32 vcc_lo, v2, v8
	v_cndmask_b32_e32 v2, v2, v8, vcc_lo
.LBB35_608:
	s_or_b32 exec_lo, exec_lo, s3
	s_waitcnt lgkmcnt(0)
	s_delay_alu instid0(VALU_DEP_1)
	v_dual_mov_b32 v9, v4 :: v_dual_mov_b32 v8, v2
	v_mov_b32_e32 v7, v1
.LBB35_609:
	s_or_b32 exec_lo, exec_lo, s2
	s_waitcnt lgkmcnt(2)
	s_delay_alu instid0(VALU_DEP_2)
	v_dual_mov_b32 v4, v9 :: v_dual_and_b32 v5, 0xff, v9
	s_waitcnt lgkmcnt(0)
	v_dual_mov_b32 v2, v8 :: v_dual_mov_b32 v1, v7
.LBB35_610:
	s_or_b32 exec_lo, exec_lo, s1
	s_delay_alu instid0(SALU_CYCLE_1)
	s_mov_b32 s1, exec_lo
	v_cmpx_eq_u32_e32 0, v3
	s_cbranch_execz .LBB35_612
; %bb.611:
	v_lshrrev_b32_e32 v6, 5, v0
	s_delay_alu instid0(VALU_DEP_1)
	v_mul_u32_u24_e32 v6, 12, v6
	ds_store_b8 v6, v4
	ds_store_2addr_b32 v6, v1, v2 offset0:1 offset1:2
.LBB35_612:
	s_or_b32 exec_lo, exec_lo, s1
	s_delay_alu instid0(SALU_CYCLE_1)
	s_mov_b32 s1, exec_lo
	s_waitcnt lgkmcnt(0)
	s_barrier
	buffer_gl0_inv
	v_cmpx_gt_u32_e32 8, v0
	s_cbranch_execz .LBB35_632
; %bb.613:
	v_mul_u32_u24_e32 v1, 12, v3
	s_add_i32 s0, s0, 31
	ds_load_u8 v4, v1
	ds_load_2addr_b32 v[1:2], v1 offset0:1 offset1:2
	v_and_b32_e32 v6, 7, v3
	s_lshr_b32 s0, s0, 5
	s_delay_alu instid0(VALU_DEP_1) | instskip(SKIP_1) | instid1(VALU_DEP_1)
	v_cmp_ne_u32_e32 vcc_lo, 7, v6
	v_add_co_ci_u32_e32 v5, vcc_lo, 0, v3, vcc_lo
	v_lshlrev_b32_e32 v7, 2, v5
	s_waitcnt lgkmcnt(0)
	v_dual_mov_b32 v8, v2 :: v_dual_and_b32 v5, 0xff, v4
	ds_bpermute_b32 v9, v7, v1
	ds_bpermute_b32 v10, v7, v2
	;; [unrolled: 1-line block ×3, first 2 shown]
	v_add_nc_u32_e32 v7, 1, v6
	s_delay_alu instid0(VALU_DEP_1)
	v_cmp_gt_u32_e32 vcc_lo, s0, v7
	v_mov_b32_e32 v7, v1
	s_and_saveexec_b32 s2, vcc_lo
	s_cbranch_execz .LBB35_619
; %bb.614:
	v_and_b32_e32 v5, 1, v4
	s_mov_b32 s3, exec_lo
	s_delay_alu instid0(VALU_DEP_1)
	v_cmpx_eq_u32_e32 1, v5
	s_cbranch_execz .LBB35_618
; %bb.615:
	s_waitcnt lgkmcnt(0)
	v_and_b32_e32 v5, 1, v11
	s_mov_b32 s4, exec_lo
	s_delay_alu instid0(VALU_DEP_1)
	v_cmpx_eq_u32_e32 1, v5
; %bb.616:
	v_cmp_gt_f32_e32 vcc_lo, v1, v9
	v_dual_mov_b32 v4, 1 :: v_dual_cndmask_b32 v1, v1, v9
	v_cmp_lt_f32_e32 vcc_lo, v2, v10
	v_cndmask_b32_e32 v2, v2, v10, vcc_lo
; %bb.617:
	s_or_b32 exec_lo, exec_lo, s4
	s_delay_alu instid0(VALU_DEP_1)
	v_dual_mov_b32 v11, v4 :: v_dual_mov_b32 v10, v2
	v_mov_b32_e32 v9, v1
.LBB35_618:
	s_or_b32 exec_lo, exec_lo, s3
	s_waitcnt lgkmcnt(0)
	s_delay_alu instid0(VALU_DEP_2) | instskip(NEXT) | instid1(VALU_DEP_2)
	v_dual_mov_b32 v8, v10 :: v_dual_and_b32 v5, 0xff, v11
	v_dual_mov_b32 v7, v9 :: v_dual_mov_b32 v4, v11
	v_dual_mov_b32 v2, v10 :: v_dual_mov_b32 v1, v9
.LBB35_619:
	s_or_b32 exec_lo, exec_lo, s2
	v_cmp_gt_u32_e32 vcc_lo, 6, v6
	v_add_nc_u32_e32 v12, 2, v6
	s_mov_b32 s2, exec_lo
	s_waitcnt lgkmcnt(2)
	v_cndmask_b32_e64 v9, 0, 1, vcc_lo
	s_delay_alu instid0(VALU_DEP_1) | instskip(SKIP_1) | instid1(VALU_DEP_1)
	v_lshlrev_b32_e32 v9, 1, v9
	s_waitcnt lgkmcnt(1)
	v_add_lshl_u32 v10, v9, v3, 2
	s_waitcnt lgkmcnt(0)
	ds_bpermute_b32 v11, v10, v5
	ds_bpermute_b32 v9, v10, v7
	ds_bpermute_b32 v10, v10, v8
	v_cmpx_gt_u32_e64 s0, v12
	s_cbranch_execz .LBB35_625
; %bb.620:
	v_and_b32_e32 v5, 1, v4
	s_mov_b32 s3, exec_lo
	s_delay_alu instid0(VALU_DEP_1)
	v_cmpx_eq_u32_e32 1, v5
	s_cbranch_execz .LBB35_624
; %bb.621:
	s_waitcnt lgkmcnt(2)
	v_and_b32_e32 v5, 1, v11
	s_mov_b32 s4, exec_lo
	s_delay_alu instid0(VALU_DEP_1)
	v_cmpx_eq_u32_e32 1, v5
	s_cbranch_execz .LBB35_623
; %bb.622:
	s_waitcnt lgkmcnt(1)
	v_cmp_gt_f32_e32 vcc_lo, v1, v9
	v_dual_mov_b32 v4, 1 :: v_dual_cndmask_b32 v1, v1, v9
	s_waitcnt lgkmcnt(0)
	v_cmp_lt_f32_e32 vcc_lo, v2, v10
	v_cndmask_b32_e32 v2, v2, v10, vcc_lo
.LBB35_623:
	s_or_b32 exec_lo, exec_lo, s4
	s_waitcnt lgkmcnt(0)
	s_delay_alu instid0(VALU_DEP_1)
	v_dual_mov_b32 v11, v4 :: v_dual_mov_b32 v10, v2
	v_mov_b32_e32 v9, v1
.LBB35_624:
	s_or_b32 exec_lo, exec_lo, s3
	s_waitcnt lgkmcnt(0)
	s_delay_alu instid0(VALU_DEP_2) | instskip(NEXT) | instid1(VALU_DEP_2)
	v_dual_mov_b32 v8, v10 :: v_dual_and_b32 v5, 0xff, v11
	v_dual_mov_b32 v7, v9 :: v_dual_mov_b32 v4, v11
	v_dual_mov_b32 v2, v10 :: v_dual_mov_b32 v1, v9
.LBB35_625:
	s_or_b32 exec_lo, exec_lo, s2
	v_cmp_gt_u32_e32 vcc_lo, 4, v6
	v_add_nc_u32_e32 v6, 4, v6
	s_waitcnt lgkmcnt(1)
	v_cndmask_b32_e64 v9, 0, 1, vcc_lo
	s_delay_alu instid0(VALU_DEP_2) | instskip(NEXT) | instid1(VALU_DEP_2)
	v_cmp_gt_u32_e32 vcc_lo, s0, v6
	v_lshlrev_b32_e32 v9, 2, v9
	s_waitcnt lgkmcnt(0)
	s_delay_alu instid0(VALU_DEP_1)
	v_add_lshl_u32 v10, v9, v3, 2
	ds_bpermute_b32 v9, v10, v5
	ds_bpermute_b32 v3, v10, v7
	;; [unrolled: 1-line block ×3, first 2 shown]
	s_and_saveexec_b32 s0, vcc_lo
	s_cbranch_execz .LBB35_631
; %bb.626:
	v_and_b32_e32 v5, 1, v4
	s_mov_b32 s2, exec_lo
	s_delay_alu instid0(VALU_DEP_1)
	v_cmpx_eq_u32_e32 1, v5
	s_cbranch_execz .LBB35_630
; %bb.627:
	s_waitcnt lgkmcnt(2)
	v_and_b32_e32 v5, 1, v9
	s_mov_b32 s3, exec_lo
	s_delay_alu instid0(VALU_DEP_1)
	v_cmpx_eq_u32_e32 1, v5
	s_cbranch_execz .LBB35_629
; %bb.628:
	s_waitcnt lgkmcnt(1)
	v_cmp_gt_f32_e32 vcc_lo, v1, v3
	v_dual_mov_b32 v4, 1 :: v_dual_cndmask_b32 v1, v1, v3
	s_waitcnt lgkmcnt(0)
	v_cmp_lt_f32_e32 vcc_lo, v2, v7
	v_cndmask_b32_e32 v2, v2, v7, vcc_lo
.LBB35_629:
	s_or_b32 exec_lo, exec_lo, s3
	v_mov_b32_e32 v9, v4
	s_waitcnt lgkmcnt(1)
	v_mov_b32_e32 v3, v1
	s_waitcnt lgkmcnt(0)
	v_mov_b32_e32 v7, v2
.LBB35_630:
	s_or_b32 exec_lo, exec_lo, s2
	s_waitcnt lgkmcnt(0)
	s_delay_alu instid0(VALU_DEP_1)
	v_dual_mov_b32 v2, v7 :: v_dual_and_b32 v5, 0xff, v9
	v_mov_b32_e32 v1, v3
.LBB35_631:
	s_or_b32 exec_lo, exec_lo, s0
.LBB35_632:
	s_delay_alu instid0(SALU_CYCLE_1)
	s_or_b32 exec_lo, exec_lo, s1
.LBB35_633:
                                        ; implicit-def: $vgpr4
                                        ; implicit-def: $vgpr6
	s_delay_alu instid0(SALU_CYCLE_1)
	s_mov_b32 s0, exec_lo
	v_cmpx_eq_u32_e32 0, v0
	s_xor_b32 s2, exec_lo, s0
	s_cbranch_execz .LBB35_639
; %bb.634:
	s_waitcnt lgkmcnt(1)
	v_dual_mov_b32 v4, s27 :: v_dual_mov_b32 v3, s26
	v_mov_b32_e32 v6, s30
	s_cmp_eq_u64 s[20:21], 0
	s_cbranch_scc1 .LBB35_638
; %bb.635:
	s_bitcmp0_b32 s30, 0
	s_cbranch_scc1 .LBB35_637
; %bb.636:
	v_and_b32_e32 v3, 1, v5
	v_cmp_gt_f32_e32 vcc_lo, s26, v1
	s_waitcnt lgkmcnt(0)
	v_cmp_lt_f32_e64 s1, s27, v2
	s_delay_alu instid0(VALU_DEP_3) | instskip(NEXT) | instid1(VALU_DEP_1)
	v_cmp_eq_u32_e64 s0, 1, v3
	s_and_b32 vcc_lo, s0, vcc_lo
	v_cndmask_b32_e64 v5, s30, 1, s0
	v_cndmask_b32_e32 v1, s26, v1, vcc_lo
	s_and_b32 vcc_lo, s0, s1
	v_cndmask_b32_e32 v2, s27, v2, vcc_lo
.LBB35_637:
	s_waitcnt lgkmcnt(0)
	s_delay_alu instid0(VALU_DEP_1)
	v_dual_mov_b32 v4, v2 :: v_dual_mov_b32 v3, v1
	v_mov_b32_e32 v6, v5
.LBB35_638:
	s_or_b32 s10, s10, exec_lo
.LBB35_639:
	s_or_b32 exec_lo, exec_lo, s2
	s_branch .LBB35_680
.LBB35_640:
	s_cmp_eq_u32 s28, 1
	s_cbranch_scc0 .LBB35_679
; %bb.641:
	s_mov_b32 s3, 0
	s_lshr_b64 s[0:1], s[20:21], 8
	s_mov_b32 s25, s3
	s_lshl_b32 s2, s24, 8
	s_cmp_lg_u64 s[0:1], s[24:25]
	s_cbranch_scc0 .LBB35_683
; %bb.642:
	s_lshl_b64 s[0:1], s[2:3], 2
	s_waitcnt lgkmcnt(1)
	v_lshlrev_b32_e32 v1, 2, v0
	s_add_u32 s0, s16, s0
	s_addc_u32 s1, s17, s1
	v_add3_u32 v4, s29, s2, v0
	global_load_b32 v1, v1, s[0:1]
	s_abs_i32 s0, s19
	s_waitcnt lgkmcnt(0)
	v_cvt_f32_u32_e32 v2, s0
	s_sub_i32 s1, 0, s0
	v_sub_nc_u32_e32 v5, 0, v4
	s_delay_alu instid0(VALU_DEP_2) | instskip(NEXT) | instid1(VALU_DEP_1)
	v_rcp_iflag_f32_e32 v2, v2
	v_max_i32_e32 v5, v4, v5
	v_ashrrev_i32_e32 v4, 31, v4
	s_waitcnt_depctr 0xfff
	v_mul_f32_e32 v2, 0x4f7ffffe, v2
	s_delay_alu instid0(VALU_DEP_1) | instskip(NEXT) | instid1(VALU_DEP_1)
	v_cvt_u32_f32_e32 v2, v2
	v_mul_lo_u32 v3, s1, v2
	s_delay_alu instid0(VALU_DEP_1) | instskip(NEXT) | instid1(VALU_DEP_1)
	v_mul_hi_u32 v3, v2, v3
	v_add_nc_u32_e32 v2, v2, v3
	s_delay_alu instid0(VALU_DEP_1) | instskip(NEXT) | instid1(VALU_DEP_1)
	v_mul_hi_u32 v2, v5, v2
	v_mul_lo_u32 v2, v2, s0
	s_delay_alu instid0(VALU_DEP_1) | instskip(NEXT) | instid1(VALU_DEP_1)
	v_sub_nc_u32_e32 v2, v5, v2
	v_subrev_nc_u32_e32 v3, s0, v2
	v_cmp_le_u32_e32 vcc_lo, s0, v2
	s_delay_alu instid0(VALU_DEP_2) | instskip(NEXT) | instid1(VALU_DEP_1)
	v_cndmask_b32_e32 v2, v2, v3, vcc_lo
	v_subrev_nc_u32_e32 v3, s0, v2
	v_cmp_le_u32_e32 vcc_lo, s0, v2
	s_delay_alu instid0(VALU_DEP_2) | instskip(NEXT) | instid1(VALU_DEP_1)
	v_cndmask_b32_e32 v2, v2, v3, vcc_lo
	v_xor_b32_e32 v2, v2, v4
	s_delay_alu instid0(VALU_DEP_1) | instskip(NEXT) | instid1(VALU_DEP_1)
	v_sub_nc_u32_e32 v2, v2, v4
	v_cmp_gt_i32_e32 vcc_lo, s18, v2
	v_cndmask_b32_e64 v2, 0, 1, vcc_lo
	v_cndmask_b32_e64 v3, 0, 1, vcc_lo
	s_delay_alu instid0(VALU_DEP_2) | instskip(NEXT) | instid1(VALU_DEP_1)
	v_mov_b32_dpp v5, v2 quad_perm:[1,0,3,2] row_mask:0xf bank_mask:0xf
	v_and_b32_e32 v2, 1, v5
	s_delay_alu instid0(VALU_DEP_1) | instskip(SKIP_3) | instid1(VALU_DEP_3)
	v_cmp_eq_u32_e64 s0, 1, v2
	s_waitcnt vmcnt(0)
	v_mov_b32_dpp v4, v1 quad_perm:[1,0,3,2] row_mask:0xf bank_mask:0xf
	v_mov_b32_e32 v2, v1
	s_and_saveexec_b32 s1, s0
	s_cbranch_execz .LBB35_646
; %bb.643:
	s_delay_alu instid0(VALU_DEP_2)
	v_mov_b32_e32 v2, v4
	s_and_saveexec_b32 s0, vcc_lo
; %bb.644:
	v_cmp_gt_f32_e32 vcc_lo, v1, v4
	v_mov_b32_e32 v5, 1
	v_cndmask_b32_e32 v3, v4, v1, vcc_lo
	v_cmp_lt_f32_e32 vcc_lo, v1, v4
	v_cndmask_b32_e32 v2, v4, v1, vcc_lo
	s_delay_alu instid0(VALU_DEP_3)
	v_mov_b32_e32 v4, v3
; %bb.645:
	s_or_b32 exec_lo, exec_lo, s0
	v_mov_b32_e32 v3, v5
	s_delay_alu instid0(VALU_DEP_2)
	v_dual_mov_b32 v1, v2 :: v_dual_mov_b32 v2, v4
.LBB35_646:
	s_or_b32 exec_lo, exec_lo, s1
	s_delay_alu instid0(VALU_DEP_2) | instskip(NEXT) | instid1(VALU_DEP_2)
	v_and_b32_e32 v4, 0xff, v3
	v_mov_b32_dpp v5, v1 quad_perm:[2,3,0,1] row_mask:0xf bank_mask:0xf
	s_mov_b32 s0, exec_lo
	s_delay_alu instid0(VALU_DEP_2) | instskip(SKIP_1) | instid1(VALU_DEP_2)
	v_mov_b32_dpp v6, v4 quad_perm:[2,3,0,1] row_mask:0xf bank_mask:0xf
	v_mov_b32_dpp v4, v2 quad_perm:[2,3,0,1] row_mask:0xf bank_mask:0xf
	v_and_b32_e32 v7, 1, v6
	s_delay_alu instid0(VALU_DEP_1)
	v_cmpx_eq_u32_e32 1, v7
	s_cbranch_execz .LBB35_650
; %bb.647:
	v_and_b32_e32 v3, 1, v3
	s_mov_b32 s1, exec_lo
	s_delay_alu instid0(VALU_DEP_1)
	v_cmpx_eq_u32_e32 1, v3
; %bb.648:
	v_cmp_gt_f32_e32 vcc_lo, v2, v4
	v_mov_b32_e32 v6, 1
	v_cndmask_b32_e32 v4, v4, v2, vcc_lo
	v_cmp_lt_f32_e32 vcc_lo, v1, v5
	v_cndmask_b32_e32 v5, v5, v1, vcc_lo
; %bb.649:
	s_or_b32 exec_lo, exec_lo, s1
	s_delay_alu instid0(VALU_DEP_3) | instskip(NEXT) | instid1(VALU_DEP_2)
	v_dual_mov_b32 v3, v6 :: v_dual_mov_b32 v2, v4
	v_mov_b32_e32 v1, v5
.LBB35_650:
	s_or_b32 exec_lo, exec_lo, s0
	s_delay_alu instid0(VALU_DEP_2) | instskip(NEXT) | instid1(VALU_DEP_2)
	v_and_b32_e32 v4, 0xff, v3
	v_mov_b32_dpp v5, v1 row_ror:4 row_mask:0xf bank_mask:0xf
	s_mov_b32 s0, exec_lo
	s_delay_alu instid0(VALU_DEP_2) | instskip(SKIP_1) | instid1(VALU_DEP_2)
	v_mov_b32_dpp v6, v4 row_ror:4 row_mask:0xf bank_mask:0xf
	v_mov_b32_dpp v4, v2 row_ror:4 row_mask:0xf bank_mask:0xf
	v_and_b32_e32 v7, 1, v6
	s_delay_alu instid0(VALU_DEP_1)
	v_cmpx_eq_u32_e32 1, v7
	s_cbranch_execz .LBB35_654
; %bb.651:
	v_and_b32_e32 v3, 1, v3
	s_mov_b32 s1, exec_lo
	s_delay_alu instid0(VALU_DEP_1)
	v_cmpx_eq_u32_e32 1, v3
; %bb.652:
	v_cmp_gt_f32_e32 vcc_lo, v2, v4
	v_mov_b32_e32 v6, 1
	v_cndmask_b32_e32 v4, v4, v2, vcc_lo
	v_cmp_lt_f32_e32 vcc_lo, v1, v5
	v_cndmask_b32_e32 v5, v5, v1, vcc_lo
; %bb.653:
	s_or_b32 exec_lo, exec_lo, s1
	s_delay_alu instid0(VALU_DEP_3) | instskip(NEXT) | instid1(VALU_DEP_2)
	v_dual_mov_b32 v3, v6 :: v_dual_mov_b32 v2, v4
	v_mov_b32_e32 v1, v5
.LBB35_654:
	s_or_b32 exec_lo, exec_lo, s0
	s_delay_alu instid0(VALU_DEP_2) | instskip(NEXT) | instid1(VALU_DEP_2)
	v_and_b32_e32 v4, 0xff, v3
	v_mov_b32_dpp v5, v1 row_ror:8 row_mask:0xf bank_mask:0xf
	s_mov_b32 s0, exec_lo
	s_delay_alu instid0(VALU_DEP_2) | instskip(SKIP_1) | instid1(VALU_DEP_2)
	v_mov_b32_dpp v6, v4 row_ror:8 row_mask:0xf bank_mask:0xf
	v_mov_b32_dpp v4, v2 row_ror:8 row_mask:0xf bank_mask:0xf
	v_and_b32_e32 v7, 1, v6
	s_delay_alu instid0(VALU_DEP_1)
	v_cmpx_eq_u32_e32 1, v7
	s_cbranch_execz .LBB35_658
; %bb.655:
	v_and_b32_e32 v3, 1, v3
	s_mov_b32 s1, exec_lo
	s_delay_alu instid0(VALU_DEP_1)
	v_cmpx_eq_u32_e32 1, v3
; %bb.656:
	v_cmp_gt_f32_e32 vcc_lo, v2, v4
	v_mov_b32_e32 v6, 1
	v_cndmask_b32_e32 v4, v4, v2, vcc_lo
	v_cmp_lt_f32_e32 vcc_lo, v1, v5
	v_cndmask_b32_e32 v5, v5, v1, vcc_lo
; %bb.657:
	s_or_b32 exec_lo, exec_lo, s1
	s_delay_alu instid0(VALU_DEP_3) | instskip(NEXT) | instid1(VALU_DEP_2)
	v_dual_mov_b32 v3, v6 :: v_dual_mov_b32 v2, v4
	v_mov_b32_e32 v1, v5
.LBB35_658:
	s_or_b32 exec_lo, exec_lo, s0
	s_delay_alu instid0(VALU_DEP_2)
	v_and_b32_e32 v4, 0xff, v3
	ds_swizzle_b32 v5, v1 offset:swizzle(BROADCAST,32,15)
	s_mov_b32 s0, exec_lo
	ds_swizzle_b32 v6, v4 offset:swizzle(BROADCAST,32,15)
	ds_swizzle_b32 v4, v2 offset:swizzle(BROADCAST,32,15)
	s_waitcnt lgkmcnt(1)
	v_and_b32_e32 v7, 1, v6
	s_delay_alu instid0(VALU_DEP_1)
	v_cmpx_eq_u32_e32 1, v7
	s_cbranch_execz .LBB35_662
; %bb.659:
	v_and_b32_e32 v3, 1, v3
	s_mov_b32 s1, exec_lo
	s_delay_alu instid0(VALU_DEP_1)
	v_cmpx_eq_u32_e32 1, v3
	s_cbranch_execz .LBB35_661
; %bb.660:
	s_waitcnt lgkmcnt(0)
	v_cmp_gt_f32_e32 vcc_lo, v2, v4
	v_mov_b32_e32 v6, 1
	v_cndmask_b32_e32 v4, v4, v2, vcc_lo
	v_cmp_lt_f32_e32 vcc_lo, v1, v5
	v_cndmask_b32_e32 v5, v5, v1, vcc_lo
.LBB35_661:
	s_or_b32 exec_lo, exec_lo, s1
	s_waitcnt lgkmcnt(0)
	v_dual_mov_b32 v3, v6 :: v_dual_mov_b32 v2, v4
	s_delay_alu instid0(VALU_DEP_2)
	v_mov_b32_e32 v1, v5
.LBB35_662:
	s_or_b32 exec_lo, exec_lo, s0
	s_waitcnt lgkmcnt(0)
	s_delay_alu instid0(VALU_DEP_2)
	v_dual_mov_b32 v4, 0 :: v_dual_and_b32 v3, 0xff, v3
	s_mov_b32 s0, exec_lo
	ds_bpermute_b32 v5, v4, v3 offset:124
	ds_bpermute_b32 v1, v4, v1 offset:124
	ds_bpermute_b32 v2, v4, v2 offset:124
	v_mbcnt_lo_u32_b32 v3, -1, 0
	s_delay_alu instid0(VALU_DEP_1)
	v_cmpx_eq_u32_e32 0, v3
	s_cbranch_execz .LBB35_664
; %bb.663:
	v_lshrrev_b32_e32 v4, 5, v0
	s_delay_alu instid0(VALU_DEP_1)
	v_mul_u32_u24_e32 v4, 12, v4
	s_waitcnt lgkmcnt(2)
	ds_store_b8 v4, v5 offset:192
	s_waitcnt lgkmcnt(1)
	ds_store_2addr_b32 v4, v1, v2 offset0:49 offset1:50
.LBB35_664:
	s_or_b32 exec_lo, exec_lo, s0
	s_delay_alu instid0(SALU_CYCLE_1)
	s_mov_b32 s0, exec_lo
	s_waitcnt lgkmcnt(0)
	s_barrier
	buffer_gl0_inv
	v_cmpx_gt_u32_e32 32, v0
	s_cbranch_execz .LBB35_678
; %bb.665:
	v_and_b32_e32 v4, 7, v3
	s_mov_b32 s1, exec_lo
	s_delay_alu instid0(VALU_DEP_1) | instskip(SKIP_4) | instid1(VALU_DEP_1)
	v_mul_u32_u24_e32 v1, 12, v4
	v_cmp_ne_u32_e32 vcc_lo, 7, v4
	ds_load_u8 v7, v1 offset:192
	ds_load_2addr_b32 v[1:2], v1 offset0:49 offset1:50
	v_add_co_ci_u32_e32 v5, vcc_lo, 0, v3, vcc_lo
	v_lshlrev_b32_e32 v5, 2, v5
	s_waitcnt lgkmcnt(1)
	v_and_b32_e32 v8, 0xff, v7
	s_waitcnt lgkmcnt(0)
	ds_bpermute_b32 v6, v5, v1
	ds_bpermute_b32 v10, v5, v8
	;; [unrolled: 1-line block ×3, first 2 shown]
	v_and_b32_e32 v8, 1, v7
	s_delay_alu instid0(VALU_DEP_1)
	v_cmpx_eq_u32_e32 1, v8
	s_cbranch_execz .LBB35_669
; %bb.666:
	s_waitcnt lgkmcnt(1)
	v_and_b32_e32 v8, 1, v10
	s_mov_b32 s4, exec_lo
	s_delay_alu instid0(VALU_DEP_1)
	v_cmpx_eq_u32_e32 1, v8
	s_cbranch_execz .LBB35_668
; %bb.667:
	v_cmp_gt_f32_e32 vcc_lo, v1, v6
	v_mov_b32_e32 v7, 1
	v_cndmask_b32_e32 v1, v1, v6, vcc_lo
	s_waitcnt lgkmcnt(0)
	v_cmp_lt_f32_e32 vcc_lo, v2, v5
	v_cndmask_b32_e32 v2, v2, v5, vcc_lo
.LBB35_668:
	s_or_b32 exec_lo, exec_lo, s4
	s_waitcnt lgkmcnt(0)
	s_delay_alu instid0(VALU_DEP_1)
	v_dual_mov_b32 v10, v7 :: v_dual_mov_b32 v5, v2
	v_mov_b32_e32 v6, v1
.LBB35_669:
	s_or_b32 exec_lo, exec_lo, s1
	v_cmp_gt_u32_e32 vcc_lo, 6, v4
	s_waitcnt lgkmcnt(1)
	v_and_b32_e32 v2, 0xff, v10
	s_mov_b32 s1, exec_lo
	v_cndmask_b32_e64 v1, 0, 1, vcc_lo
	s_delay_alu instid0(VALU_DEP_1) | instskip(NEXT) | instid1(VALU_DEP_1)
	v_lshlrev_b32_e32 v1, 1, v1
	v_add_lshl_u32 v1, v1, v3, 2
	ds_bpermute_b32 v9, v1, v2
	ds_bpermute_b32 v8, v1, v6
	s_waitcnt lgkmcnt(2)
	ds_bpermute_b32 v7, v1, v5
	v_and_b32_e32 v1, 1, v10
	s_delay_alu instid0(VALU_DEP_1)
	v_cmpx_eq_u32_e32 1, v1
	s_cbranch_execz .LBB35_673
; %bb.670:
	s_waitcnt lgkmcnt(2)
	v_and_b32_e32 v1, 1, v9
	s_mov_b32 s4, exec_lo
	s_delay_alu instid0(VALU_DEP_1)
	v_cmpx_eq_u32_e32 1, v1
	s_cbranch_execz .LBB35_672
; %bb.671:
	s_waitcnt lgkmcnt(1)
	v_cmp_gt_f32_e32 vcc_lo, v6, v8
	v_mov_b32_e32 v10, 1
	v_cndmask_b32_e32 v6, v6, v8, vcc_lo
	s_waitcnt lgkmcnt(0)
	v_cmp_lt_f32_e32 vcc_lo, v5, v7
	v_cndmask_b32_e32 v5, v5, v7, vcc_lo
.LBB35_672:
	s_or_b32 exec_lo, exec_lo, s4
	v_mov_b32_e32 v9, v10
	s_waitcnt lgkmcnt(0)
	s_delay_alu instid0(VALU_DEP_2)
	v_dual_mov_b32 v8, v6 :: v_dual_mov_b32 v7, v5
.LBB35_673:
	s_or_b32 exec_lo, exec_lo, s1
	v_cmp_gt_u32_e32 vcc_lo, 4, v4
	s_waitcnt lgkmcnt(2)
	v_and_b32_e32 v2, 0xff, v9
	s_mov_b32 s1, exec_lo
	v_cndmask_b32_e64 v1, 0, 1, vcc_lo
	s_delay_alu instid0(VALU_DEP_1) | instskip(NEXT) | instid1(VALU_DEP_1)
	v_lshlrev_b32_e32 v1, 2, v1
	v_add_lshl_u32 v4, v1, v3, 2
	ds_bpermute_b32 v3, v4, v2
	s_waitcnt lgkmcnt(2)
	ds_bpermute_b32 v1, v4, v8
	s_waitcnt lgkmcnt(2)
	ds_bpermute_b32 v2, v4, v7
	v_and_b32_e32 v4, 1, v9
	s_delay_alu instid0(VALU_DEP_1)
	v_cmpx_eq_u32_e32 1, v4
	s_cbranch_execz .LBB35_677
; %bb.674:
	s_waitcnt lgkmcnt(2)
	v_and_b32_e32 v3, 1, v3
	s_mov_b32 s4, exec_lo
	s_delay_alu instid0(VALU_DEP_1)
	v_cmpx_eq_u32_e32 1, v3
	s_cbranch_execz .LBB35_676
; %bb.675:
	s_waitcnt lgkmcnt(1)
	v_cmp_gt_f32_e32 vcc_lo, v8, v1
	v_dual_mov_b32 v9, 1 :: v_dual_cndmask_b32 v8, v8, v1
	s_waitcnt lgkmcnt(0)
	v_cmp_lt_f32_e32 vcc_lo, v7, v2
	v_cndmask_b32_e32 v7, v7, v2, vcc_lo
.LBB35_676:
	s_or_b32 exec_lo, exec_lo, s4
	s_waitcnt lgkmcnt(0)
	s_delay_alu instid0(VALU_DEP_1)
	v_dual_mov_b32 v3, v9 :: v_dual_mov_b32 v2, v7
	v_mov_b32_e32 v1, v8
.LBB35_677:
	s_or_b32 exec_lo, exec_lo, s1
	s_waitcnt lgkmcnt(2)
	s_delay_alu instid0(VALU_DEP_2)
	v_and_b32_e32 v5, 0xff, v3
.LBB35_678:
	s_or_b32 exec_lo, exec_lo, s0
	s_branch .LBB35_739
.LBB35_679:
                                        ; implicit-def: $vgpr4
                                        ; implicit-def: $vgpr6
                                        ; implicit-def: $sgpr24_sgpr25
.LBB35_680:
	s_and_saveexec_b32 s0, s10
	s_cbranch_execz .LBB35_682
.LBB35_681:
	s_mul_i32 s0, s25, 12
	s_mul_hi_u32 s1, s24, 12
	s_mul_i32 s2, s24, 12
	v_mov_b32_e32 v0, 0
	s_add_i32 s1, s1, s0
	s_add_u32 s0, s22, s2
	s_addc_u32 s1, s23, s1
	global_store_b8 v0, v6, s[0:1]
	s_waitcnt lgkmcnt(1)
	global_store_b64 v0, v[3:4], s[0:1] offset:4
.LBB35_682:
	s_nop 0
	s_sendmsg sendmsg(MSG_DEALLOC_VGPRS)
	s_endpgm
.LBB35_683:
                                        ; implicit-def: $vgpr2
                                        ; implicit-def: $vgpr5
	s_cbranch_execz .LBB35_739
; %bb.684:
	s_waitcnt lgkmcnt(0)
	v_mov_b32_e32 v2, 0
	v_mov_b32_e32 v4, 0
	s_sub_i32 s0, s20, s2
	s_mov_b32 s1, exec_lo
	v_cmpx_gt_u32_e64 s0, v0
	s_cbranch_execz .LBB35_686
; %bb.685:
	s_lshl_b64 s[4:5], s[2:3], 2
	v_lshlrev_b32_e32 v1, 2, v0
	s_add_u32 s4, s16, s4
	s_addc_u32 s5, s17, s5
	s_abs_i32 s3, s19
	v_add3_u32 v4, s29, s2, v0
	global_load_b32 v2, v1, s[4:5]
	v_cvt_f32_u32_e32 v1, s3
	s_sub_i32 s4, 0, s3
	v_sub_nc_u32_e32 v5, 0, v4
	s_delay_alu instid0(VALU_DEP_2) | instskip(NEXT) | instid1(VALU_DEP_1)
	v_rcp_iflag_f32_e32 v1, v1
	v_max_i32_e32 v5, v4, v5
	v_ashrrev_i32_e32 v4, 31, v4
	s_waitcnt_depctr 0xfff
	v_mul_f32_e32 v1, 0x4f7ffffe, v1
	s_delay_alu instid0(VALU_DEP_1) | instskip(NEXT) | instid1(VALU_DEP_1)
	v_cvt_u32_f32_e32 v1, v1
	v_mul_lo_u32 v3, s4, v1
	s_delay_alu instid0(VALU_DEP_1) | instskip(NEXT) | instid1(VALU_DEP_1)
	v_mul_hi_u32 v3, v1, v3
	v_add_nc_u32_e32 v1, v1, v3
	s_delay_alu instid0(VALU_DEP_1) | instskip(NEXT) | instid1(VALU_DEP_1)
	v_mul_hi_u32 v1, v5, v1
	v_mul_lo_u32 v1, v1, s3
	s_delay_alu instid0(VALU_DEP_1) | instskip(NEXT) | instid1(VALU_DEP_1)
	v_sub_nc_u32_e32 v1, v5, v1
	v_subrev_nc_u32_e32 v3, s3, v1
	v_cmp_le_u32_e32 vcc_lo, s3, v1
	s_delay_alu instid0(VALU_DEP_2) | instskip(NEXT) | instid1(VALU_DEP_1)
	v_cndmask_b32_e32 v1, v1, v3, vcc_lo
	v_subrev_nc_u32_e32 v3, s3, v1
	v_cmp_le_u32_e32 vcc_lo, s3, v1
	s_delay_alu instid0(VALU_DEP_2) | instskip(NEXT) | instid1(VALU_DEP_1)
	v_cndmask_b32_e32 v1, v1, v3, vcc_lo
	v_xor_b32_e32 v1, v1, v4
	s_delay_alu instid0(VALU_DEP_1) | instskip(NEXT) | instid1(VALU_DEP_1)
	v_sub_nc_u32_e32 v1, v1, v4
	v_cmp_gt_i32_e32 vcc_lo, s18, v1
	v_cndmask_b32_e64 v4, 0, 1, vcc_lo
.LBB35_686:
	s_or_b32 exec_lo, exec_lo, s1
	v_mbcnt_lo_u32_b32 v3, -1, 0
	s_delay_alu instid0(VALU_DEP_2)
	v_and_b32_e32 v5, 0xffff, v4
	s_min_u32 s0, s0, 0x100
	s_waitcnt vmcnt(0)
	v_mov_b32_e32 v7, v2
	v_cmp_ne_u32_e32 vcc_lo, 31, v3
	v_add_co_ci_u32_e32 v1, vcc_lo, 0, v3, vcc_lo
	s_delay_alu instid0(VALU_DEP_1) | instskip(SKIP_3) | instid1(VALU_DEP_1)
	v_lshlrev_b32_e32 v1, 2, v1
	ds_bpermute_b32 v9, v1, v5
	ds_bpermute_b32 v8, v1, v2
	v_and_b32_e32 v1, 0xe0, v0
	v_sub_nc_u32_e64 v6, s0, v1 clamp
	v_add_nc_u32_e32 v1, 1, v3
	s_delay_alu instid0(VALU_DEP_1)
	v_cmp_lt_u32_e32 vcc_lo, v1, v6
	v_mov_b32_e32 v1, v2
	s_and_saveexec_b32 s1, vcc_lo
	s_cbranch_execz .LBB35_692
; %bb.687:
	v_and_b32_e32 v1, 1, v4
	s_delay_alu instid0(VALU_DEP_1)
	v_cmp_eq_u32_e32 vcc_lo, 1, v1
	s_waitcnt lgkmcnt(0)
	v_mov_b32_e32 v1, v8
	s_and_saveexec_b32 s2, vcc_lo
	s_cbranch_execz .LBB35_691
; %bb.688:
	v_and_b32_e32 v1, 1, v9
	s_delay_alu instid0(VALU_DEP_1)
	v_cmp_eq_u32_e32 vcc_lo, 1, v1
	v_mov_b32_e32 v1, v2
	s_and_saveexec_b32 s3, vcc_lo
; %bb.689:
	v_cmp_gt_f32_e32 vcc_lo, v2, v8
	v_dual_mov_b32 v4, 1 :: v_dual_cndmask_b32 v1, v2, v8
	v_cmp_lt_f32_e32 vcc_lo, v2, v8
	v_cndmask_b32_e32 v2, v2, v8, vcc_lo
; %bb.690:
	s_or_b32 exec_lo, exec_lo, s3
	s_delay_alu instid0(VALU_DEP_3) | instskip(NEXT) | instid1(VALU_DEP_2)
	v_dual_mov_b32 v9, v4 :: v_dual_mov_b32 v8, v1
	v_mov_b32_e32 v1, v2
.LBB35_691:
	s_or_b32 exec_lo, exec_lo, s2
	s_delay_alu instid0(VALU_DEP_1) | instskip(NEXT) | instid1(VALU_DEP_3)
	v_dual_mov_b32 v2, v1 :: v_dual_and_b32 v5, 0xff, v9
	v_dual_mov_b32 v7, v8 :: v_dual_mov_b32 v4, v9
	v_mov_b32_e32 v1, v8
.LBB35_692:
	s_or_b32 exec_lo, exec_lo, s1
	v_cmp_gt_u32_e32 vcc_lo, 30, v3
	v_add_nc_u32_e32 v11, 2, v3
	s_mov_b32 s1, exec_lo
	s_waitcnt lgkmcnt(0)
	v_cndmask_b32_e64 v8, 0, 1, vcc_lo
	s_delay_alu instid0(VALU_DEP_1) | instskip(NEXT) | instid1(VALU_DEP_1)
	v_lshlrev_b32_e32 v8, 1, v8
	v_add_lshl_u32 v9, v8, v3, 2
	ds_bpermute_b32 v10, v9, v5
	ds_bpermute_b32 v8, v9, v7
	;; [unrolled: 1-line block ×3, first 2 shown]
	v_cmpx_lt_u32_e64 v11, v6
	s_cbranch_execz .LBB35_698
; %bb.693:
	v_and_b32_e32 v5, 1, v4
	s_mov_b32 s2, exec_lo
	s_delay_alu instid0(VALU_DEP_1)
	v_cmpx_eq_u32_e32 1, v5
	s_cbranch_execz .LBB35_697
; %bb.694:
	s_waitcnt lgkmcnt(2)
	v_and_b32_e32 v5, 1, v10
	s_mov_b32 s3, exec_lo
	s_delay_alu instid0(VALU_DEP_1)
	v_cmpx_eq_u32_e32 1, v5
	s_cbranch_execz .LBB35_696
; %bb.695:
	s_waitcnt lgkmcnt(1)
	v_cmp_gt_f32_e32 vcc_lo, v1, v8
	v_dual_mov_b32 v4, 1 :: v_dual_cndmask_b32 v1, v1, v8
	s_waitcnt lgkmcnt(0)
	v_cmp_lt_f32_e32 vcc_lo, v2, v9
	v_cndmask_b32_e32 v2, v2, v9, vcc_lo
.LBB35_696:
	s_or_b32 exec_lo, exec_lo, s3
	s_waitcnt lgkmcnt(0)
	s_delay_alu instid0(VALU_DEP_1)
	v_dual_mov_b32 v10, v4 :: v_dual_mov_b32 v9, v2
	v_mov_b32_e32 v8, v1
.LBB35_697:
	s_or_b32 exec_lo, exec_lo, s2
	s_waitcnt lgkmcnt(0)
	s_delay_alu instid0(VALU_DEP_2) | instskip(NEXT) | instid1(VALU_DEP_2)
	v_dual_mov_b32 v2, v9 :: v_dual_and_b32 v5, 0xff, v10
	v_dual_mov_b32 v7, v8 :: v_dual_mov_b32 v4, v10
	v_mov_b32_e32 v1, v8
.LBB35_698:
	s_or_b32 exec_lo, exec_lo, s1
	v_cmp_gt_u32_e32 vcc_lo, 28, v3
	v_add_nc_u32_e32 v11, 4, v3
	s_mov_b32 s1, exec_lo
	s_waitcnt lgkmcnt(1)
	v_cndmask_b32_e64 v8, 0, 1, vcc_lo
	s_delay_alu instid0(VALU_DEP_1) | instskip(SKIP_1) | instid1(VALU_DEP_1)
	v_lshlrev_b32_e32 v8, 2, v8
	s_waitcnt lgkmcnt(0)
	v_add_lshl_u32 v9, v8, v3, 2
	ds_bpermute_b32 v10, v9, v5
	ds_bpermute_b32 v8, v9, v7
	;; [unrolled: 1-line block ×3, first 2 shown]
	v_cmpx_lt_u32_e64 v11, v6
	s_cbranch_execz .LBB35_704
; %bb.699:
	v_and_b32_e32 v5, 1, v4
	s_mov_b32 s2, exec_lo
	s_delay_alu instid0(VALU_DEP_1)
	v_cmpx_eq_u32_e32 1, v5
	s_cbranch_execz .LBB35_703
; %bb.700:
	s_waitcnt lgkmcnt(2)
	v_and_b32_e32 v5, 1, v10
	s_mov_b32 s3, exec_lo
	s_delay_alu instid0(VALU_DEP_1)
	v_cmpx_eq_u32_e32 1, v5
	s_cbranch_execz .LBB35_702
; %bb.701:
	s_waitcnt lgkmcnt(1)
	v_cmp_gt_f32_e32 vcc_lo, v1, v8
	v_dual_mov_b32 v4, 1 :: v_dual_cndmask_b32 v1, v1, v8
	s_waitcnt lgkmcnt(0)
	v_cmp_lt_f32_e32 vcc_lo, v2, v9
	v_cndmask_b32_e32 v2, v2, v9, vcc_lo
.LBB35_702:
	s_or_b32 exec_lo, exec_lo, s3
	s_waitcnt lgkmcnt(0)
	s_delay_alu instid0(VALU_DEP_1)
	v_dual_mov_b32 v10, v4 :: v_dual_mov_b32 v9, v2
	v_mov_b32_e32 v8, v1
.LBB35_703:
	s_or_b32 exec_lo, exec_lo, s2
	s_waitcnt lgkmcnt(0)
	s_delay_alu instid0(VALU_DEP_2) | instskip(NEXT) | instid1(VALU_DEP_2)
	v_dual_mov_b32 v2, v9 :: v_dual_and_b32 v5, 0xff, v10
	v_dual_mov_b32 v7, v8 :: v_dual_mov_b32 v4, v10
	v_mov_b32_e32 v1, v8
.LBB35_704:
	s_or_b32 exec_lo, exec_lo, s1
	v_cmp_gt_u32_e32 vcc_lo, 24, v3
	v_add_nc_u32_e32 v11, 8, v3
	s_mov_b32 s1, exec_lo
	s_waitcnt lgkmcnt(1)
	v_cndmask_b32_e64 v8, 0, 1, vcc_lo
	s_delay_alu instid0(VALU_DEP_1) | instskip(SKIP_1) | instid1(VALU_DEP_1)
	v_lshlrev_b32_e32 v8, 3, v8
	s_waitcnt lgkmcnt(0)
	v_add_lshl_u32 v9, v8, v3, 2
	ds_bpermute_b32 v10, v9, v5
	ds_bpermute_b32 v8, v9, v7
	;; [unrolled: 1-line block ×3, first 2 shown]
	v_cmpx_lt_u32_e64 v11, v6
	s_cbranch_execz .LBB35_710
; %bb.705:
	v_and_b32_e32 v5, 1, v4
	s_mov_b32 s2, exec_lo
	s_delay_alu instid0(VALU_DEP_1)
	v_cmpx_eq_u32_e32 1, v5
	s_cbranch_execz .LBB35_709
; %bb.706:
	s_waitcnt lgkmcnt(2)
	v_and_b32_e32 v5, 1, v10
	s_mov_b32 s3, exec_lo
	s_delay_alu instid0(VALU_DEP_1)
	v_cmpx_eq_u32_e32 1, v5
	s_cbranch_execz .LBB35_708
; %bb.707:
	s_waitcnt lgkmcnt(1)
	v_cmp_gt_f32_e32 vcc_lo, v1, v8
	v_dual_mov_b32 v4, 1 :: v_dual_cndmask_b32 v1, v1, v8
	s_waitcnt lgkmcnt(0)
	v_cmp_lt_f32_e32 vcc_lo, v2, v9
	v_cndmask_b32_e32 v2, v2, v9, vcc_lo
.LBB35_708:
	s_or_b32 exec_lo, exec_lo, s3
	s_waitcnt lgkmcnt(0)
	s_delay_alu instid0(VALU_DEP_1)
	v_dual_mov_b32 v10, v4 :: v_dual_mov_b32 v9, v2
	v_mov_b32_e32 v8, v1
.LBB35_709:
	s_or_b32 exec_lo, exec_lo, s2
	s_waitcnt lgkmcnt(0)
	s_delay_alu instid0(VALU_DEP_2) | instskip(NEXT) | instid1(VALU_DEP_2)
	v_dual_mov_b32 v2, v9 :: v_dual_and_b32 v5, 0xff, v10
	v_dual_mov_b32 v7, v8 :: v_dual_mov_b32 v4, v10
	v_mov_b32_e32 v1, v8
.LBB35_710:
	s_or_b32 exec_lo, exec_lo, s1
	v_cmp_gt_u32_e32 vcc_lo, 16, v3
	s_waitcnt lgkmcnt(2)
	v_add_nc_u32_e32 v10, 16, v3
	s_mov_b32 s1, exec_lo
	s_waitcnt lgkmcnt(1)
	v_cndmask_b32_e64 v8, 0, 1, vcc_lo
	s_delay_alu instid0(VALU_DEP_1) | instskip(NEXT) | instid1(VALU_DEP_1)
	v_lshlrev_b32_e32 v8, 4, v8
	v_add_lshl_u32 v8, v8, v3, 2
	s_waitcnt lgkmcnt(0)
	ds_bpermute_b32 v9, v8, v5
	ds_bpermute_b32 v7, v8, v7
	;; [unrolled: 1-line block ×3, first 2 shown]
	v_cmpx_lt_u32_e64 v10, v6
	s_cbranch_execz .LBB35_716
; %bb.711:
	v_and_b32_e32 v5, 1, v4
	s_mov_b32 s2, exec_lo
	s_delay_alu instid0(VALU_DEP_1)
	v_cmpx_eq_u32_e32 1, v5
	s_cbranch_execz .LBB35_715
; %bb.712:
	s_waitcnt lgkmcnt(2)
	v_and_b32_e32 v5, 1, v9
	s_mov_b32 s3, exec_lo
	s_delay_alu instid0(VALU_DEP_1)
	v_cmpx_eq_u32_e32 1, v5
	s_cbranch_execz .LBB35_714
; %bb.713:
	s_waitcnt lgkmcnt(1)
	v_cmp_gt_f32_e32 vcc_lo, v1, v7
	v_dual_mov_b32 v4, 1 :: v_dual_cndmask_b32 v1, v1, v7
	s_waitcnt lgkmcnt(0)
	v_cmp_lt_f32_e32 vcc_lo, v2, v8
	v_cndmask_b32_e32 v2, v2, v8, vcc_lo
.LBB35_714:
	s_or_b32 exec_lo, exec_lo, s3
	s_waitcnt lgkmcnt(0)
	s_delay_alu instid0(VALU_DEP_1)
	v_dual_mov_b32 v9, v4 :: v_dual_mov_b32 v8, v2
	v_mov_b32_e32 v7, v1
.LBB35_715:
	s_or_b32 exec_lo, exec_lo, s2
	s_waitcnt lgkmcnt(2)
	s_delay_alu instid0(VALU_DEP_2)
	v_dual_mov_b32 v4, v9 :: v_dual_and_b32 v5, 0xff, v9
	s_waitcnt lgkmcnt(0)
	v_dual_mov_b32 v2, v8 :: v_dual_mov_b32 v1, v7
.LBB35_716:
	s_or_b32 exec_lo, exec_lo, s1
	s_delay_alu instid0(SALU_CYCLE_1)
	s_mov_b32 s1, exec_lo
	v_cmpx_eq_u32_e32 0, v3
	s_cbranch_execz .LBB35_718
; %bb.717:
	v_lshrrev_b32_e32 v6, 5, v0
	s_delay_alu instid0(VALU_DEP_1)
	v_mul_u32_u24_e32 v6, 12, v6
	ds_store_b8 v6, v4
	ds_store_2addr_b32 v6, v1, v2 offset0:1 offset1:2
.LBB35_718:
	s_or_b32 exec_lo, exec_lo, s1
	s_delay_alu instid0(SALU_CYCLE_1)
	s_mov_b32 s1, exec_lo
	s_waitcnt lgkmcnt(0)
	s_barrier
	buffer_gl0_inv
	v_cmpx_gt_u32_e32 8, v0
	s_cbranch_execz .LBB35_738
; %bb.719:
	v_mul_u32_u24_e32 v1, 12, v3
	s_add_i32 s0, s0, 31
	ds_load_u8 v4, v1
	ds_load_2addr_b32 v[1:2], v1 offset0:1 offset1:2
	v_and_b32_e32 v6, 7, v3
	s_lshr_b32 s0, s0, 5
	s_delay_alu instid0(VALU_DEP_1) | instskip(SKIP_1) | instid1(VALU_DEP_1)
	v_cmp_ne_u32_e32 vcc_lo, 7, v6
	v_add_co_ci_u32_e32 v5, vcc_lo, 0, v3, vcc_lo
	v_lshlrev_b32_e32 v7, 2, v5
	s_waitcnt lgkmcnt(0)
	v_dual_mov_b32 v8, v2 :: v_dual_and_b32 v5, 0xff, v4
	ds_bpermute_b32 v9, v7, v1
	ds_bpermute_b32 v10, v7, v2
	;; [unrolled: 1-line block ×3, first 2 shown]
	v_add_nc_u32_e32 v7, 1, v6
	s_delay_alu instid0(VALU_DEP_1)
	v_cmp_gt_u32_e32 vcc_lo, s0, v7
	v_mov_b32_e32 v7, v1
	s_and_saveexec_b32 s2, vcc_lo
	s_cbranch_execz .LBB35_725
; %bb.720:
	v_and_b32_e32 v5, 1, v4
	s_mov_b32 s3, exec_lo
	s_delay_alu instid0(VALU_DEP_1)
	v_cmpx_eq_u32_e32 1, v5
	s_cbranch_execz .LBB35_724
; %bb.721:
	s_waitcnt lgkmcnt(0)
	v_and_b32_e32 v5, 1, v11
	s_mov_b32 s4, exec_lo
	s_delay_alu instid0(VALU_DEP_1)
	v_cmpx_eq_u32_e32 1, v5
; %bb.722:
	v_cmp_gt_f32_e32 vcc_lo, v1, v9
	v_dual_mov_b32 v4, 1 :: v_dual_cndmask_b32 v1, v1, v9
	v_cmp_lt_f32_e32 vcc_lo, v2, v10
	v_cndmask_b32_e32 v2, v2, v10, vcc_lo
; %bb.723:
	s_or_b32 exec_lo, exec_lo, s4
	s_delay_alu instid0(VALU_DEP_1)
	v_dual_mov_b32 v11, v4 :: v_dual_mov_b32 v10, v2
	v_mov_b32_e32 v9, v1
.LBB35_724:
	s_or_b32 exec_lo, exec_lo, s3
	s_waitcnt lgkmcnt(0)
	s_delay_alu instid0(VALU_DEP_2) | instskip(NEXT) | instid1(VALU_DEP_2)
	v_dual_mov_b32 v8, v10 :: v_dual_and_b32 v5, 0xff, v11
	v_dual_mov_b32 v7, v9 :: v_dual_mov_b32 v4, v11
	v_dual_mov_b32 v2, v10 :: v_dual_mov_b32 v1, v9
.LBB35_725:
	s_or_b32 exec_lo, exec_lo, s2
	v_cmp_gt_u32_e32 vcc_lo, 6, v6
	v_add_nc_u32_e32 v12, 2, v6
	s_mov_b32 s2, exec_lo
	s_waitcnt lgkmcnt(2)
	v_cndmask_b32_e64 v9, 0, 1, vcc_lo
	s_delay_alu instid0(VALU_DEP_1) | instskip(SKIP_1) | instid1(VALU_DEP_1)
	v_lshlrev_b32_e32 v9, 1, v9
	s_waitcnt lgkmcnt(1)
	v_add_lshl_u32 v10, v9, v3, 2
	s_waitcnt lgkmcnt(0)
	ds_bpermute_b32 v11, v10, v5
	ds_bpermute_b32 v9, v10, v7
	;; [unrolled: 1-line block ×3, first 2 shown]
	v_cmpx_gt_u32_e64 s0, v12
	s_cbranch_execz .LBB35_731
; %bb.726:
	v_and_b32_e32 v5, 1, v4
	s_mov_b32 s3, exec_lo
	s_delay_alu instid0(VALU_DEP_1)
	v_cmpx_eq_u32_e32 1, v5
	s_cbranch_execz .LBB35_730
; %bb.727:
	s_waitcnt lgkmcnt(2)
	v_and_b32_e32 v5, 1, v11
	s_mov_b32 s4, exec_lo
	s_delay_alu instid0(VALU_DEP_1)
	v_cmpx_eq_u32_e32 1, v5
	s_cbranch_execz .LBB35_729
; %bb.728:
	s_waitcnt lgkmcnt(1)
	v_cmp_gt_f32_e32 vcc_lo, v1, v9
	v_dual_mov_b32 v4, 1 :: v_dual_cndmask_b32 v1, v1, v9
	s_waitcnt lgkmcnt(0)
	v_cmp_lt_f32_e32 vcc_lo, v2, v10
	v_cndmask_b32_e32 v2, v2, v10, vcc_lo
.LBB35_729:
	s_or_b32 exec_lo, exec_lo, s4
	s_waitcnt lgkmcnt(0)
	s_delay_alu instid0(VALU_DEP_1)
	v_dual_mov_b32 v11, v4 :: v_dual_mov_b32 v10, v2
	v_mov_b32_e32 v9, v1
.LBB35_730:
	s_or_b32 exec_lo, exec_lo, s3
	s_waitcnt lgkmcnt(0)
	s_delay_alu instid0(VALU_DEP_2) | instskip(NEXT) | instid1(VALU_DEP_2)
	v_dual_mov_b32 v8, v10 :: v_dual_and_b32 v5, 0xff, v11
	v_dual_mov_b32 v7, v9 :: v_dual_mov_b32 v4, v11
	v_dual_mov_b32 v2, v10 :: v_dual_mov_b32 v1, v9
.LBB35_731:
	s_or_b32 exec_lo, exec_lo, s2
	v_cmp_gt_u32_e32 vcc_lo, 4, v6
	v_add_nc_u32_e32 v6, 4, v6
	s_waitcnt lgkmcnt(1)
	v_cndmask_b32_e64 v9, 0, 1, vcc_lo
	s_delay_alu instid0(VALU_DEP_2) | instskip(NEXT) | instid1(VALU_DEP_2)
	v_cmp_gt_u32_e32 vcc_lo, s0, v6
	v_lshlrev_b32_e32 v9, 2, v9
	s_waitcnt lgkmcnt(0)
	s_delay_alu instid0(VALU_DEP_1)
	v_add_lshl_u32 v10, v9, v3, 2
	ds_bpermute_b32 v9, v10, v5
	ds_bpermute_b32 v3, v10, v7
	ds_bpermute_b32 v7, v10, v8
	s_and_saveexec_b32 s0, vcc_lo
	s_cbranch_execz .LBB35_737
; %bb.732:
	v_and_b32_e32 v5, 1, v4
	s_mov_b32 s2, exec_lo
	s_delay_alu instid0(VALU_DEP_1)
	v_cmpx_eq_u32_e32 1, v5
	s_cbranch_execz .LBB35_736
; %bb.733:
	s_waitcnt lgkmcnt(2)
	v_and_b32_e32 v5, 1, v9
	s_mov_b32 s3, exec_lo
	s_delay_alu instid0(VALU_DEP_1)
	v_cmpx_eq_u32_e32 1, v5
	s_cbranch_execz .LBB35_735
; %bb.734:
	s_waitcnt lgkmcnt(1)
	v_cmp_gt_f32_e32 vcc_lo, v1, v3
	v_dual_mov_b32 v4, 1 :: v_dual_cndmask_b32 v1, v1, v3
	s_waitcnt lgkmcnt(0)
	v_cmp_lt_f32_e32 vcc_lo, v2, v7
	v_cndmask_b32_e32 v2, v2, v7, vcc_lo
.LBB35_735:
	s_or_b32 exec_lo, exec_lo, s3
	v_mov_b32_e32 v9, v4
	s_waitcnt lgkmcnt(1)
	v_mov_b32_e32 v3, v1
	s_waitcnt lgkmcnt(0)
	v_mov_b32_e32 v7, v2
.LBB35_736:
	s_or_b32 exec_lo, exec_lo, s2
	s_waitcnt lgkmcnt(0)
	s_delay_alu instid0(VALU_DEP_1)
	v_dual_mov_b32 v2, v7 :: v_dual_and_b32 v5, 0xff, v9
	v_mov_b32_e32 v1, v3
.LBB35_737:
	s_or_b32 exec_lo, exec_lo, s0
.LBB35_738:
	s_delay_alu instid0(SALU_CYCLE_1)
	s_or_b32 exec_lo, exec_lo, s1
.LBB35_739:
	s_delay_alu instid0(SALU_CYCLE_1)
	s_mov_b32 s2, exec_lo
                                        ; implicit-def: $vgpr4
                                        ; implicit-def: $vgpr6
	v_cmpx_eq_u32_e32 0, v0
	s_cbranch_execz .LBB35_745
; %bb.740:
	s_waitcnt lgkmcnt(1)
	v_dual_mov_b32 v4, s27 :: v_dual_mov_b32 v3, s26
	v_mov_b32_e32 v6, s30
	s_cmp_eq_u64 s[20:21], 0
	s_cbranch_scc1 .LBB35_744
; %bb.741:
	s_bitcmp0_b32 s30, 0
	s_cbranch_scc1 .LBB35_743
; %bb.742:
	v_and_b32_e32 v0, 1, v5
	v_cmp_gt_f32_e32 vcc_lo, s26, v1
	s_waitcnt lgkmcnt(0)
	v_cmp_lt_f32_e64 s1, s27, v2
	s_delay_alu instid0(VALU_DEP_3) | instskip(NEXT) | instid1(VALU_DEP_1)
	v_cmp_eq_u32_e64 s0, 1, v0
	s_and_b32 vcc_lo, s0, vcc_lo
	v_cndmask_b32_e64 v5, s30, 1, s0
	v_cndmask_b32_e32 v1, s26, v1, vcc_lo
	s_and_b32 vcc_lo, s0, s1
	v_cndmask_b32_e32 v2, s27, v2, vcc_lo
.LBB35_743:
	s_waitcnt lgkmcnt(0)
	s_delay_alu instid0(VALU_DEP_1)
	v_dual_mov_b32 v4, v2 :: v_dual_mov_b32 v3, v1
	v_mov_b32_e32 v6, v5
.LBB35_744:
	s_or_b32 s10, s10, exec_lo
.LBB35_745:
	s_or_b32 exec_lo, exec_lo, s2
	s_and_saveexec_b32 s0, s10
	s_cbranch_execnz .LBB35_681
	s_branch .LBB35_682
	.section	.rodata,"a",@progbits
	.p2align	6, 0x0
	.amdhsa_kernel _ZN7rocprim17ROCPRIM_400000_NS6detail17trampoline_kernelINS0_14default_configENS1_22reduce_config_selectorIN6thrust23THRUST_200600_302600_NS5tupleIbffNS6_9null_typeES8_S8_S8_S8_S8_S8_EEEEZNS1_11reduce_implILb1ES3_NS6_11hip_rocprim26transform_input_iterator_tIS9_NS6_12zip_iteratorINS7_INS6_17counting_iteratorIiNS6_11use_defaultESG_SG_EENS6_6detail15normal_iteratorINS6_10device_ptrIfEEEES8_S8_S8_S8_S8_S8_S8_S8_EEEE15transform_tupleIifEEEPS9_S9_12reduce_tupleIifEEE10hipError_tPvRmT1_T2_T3_mT4_P12ihipStream_tbEUlT_E1_NS1_11comp_targetILNS1_3genE9ELNS1_11target_archE1100ELNS1_3gpuE3ELNS1_3repE0EEENS1_30default_config_static_selectorELNS0_4arch9wavefront6targetE0EEEvSY_
		.amdhsa_group_segment_fixed_size 576
		.amdhsa_private_segment_fixed_size 0
		.amdhsa_kernarg_size 64
		.amdhsa_user_sgpr_count 15
		.amdhsa_user_sgpr_dispatch_ptr 0
		.amdhsa_user_sgpr_queue_ptr 0
		.amdhsa_user_sgpr_kernarg_segment_ptr 1
		.amdhsa_user_sgpr_dispatch_id 0
		.amdhsa_user_sgpr_private_segment_size 0
		.amdhsa_wavefront_size32 1
		.amdhsa_uses_dynamic_stack 0
		.amdhsa_enable_private_segment 0
		.amdhsa_system_sgpr_workgroup_id_x 1
		.amdhsa_system_sgpr_workgroup_id_y 0
		.amdhsa_system_sgpr_workgroup_id_z 0
		.amdhsa_system_sgpr_workgroup_info 0
		.amdhsa_system_vgpr_workitem_id 0
		.amdhsa_next_free_vgpr 64
		.amdhsa_next_free_sgpr 38
		.amdhsa_reserve_vcc 1
		.amdhsa_float_round_mode_32 0
		.amdhsa_float_round_mode_16_64 0
		.amdhsa_float_denorm_mode_32 3
		.amdhsa_float_denorm_mode_16_64 3
		.amdhsa_dx10_clamp 1
		.amdhsa_ieee_mode 1
		.amdhsa_fp16_overflow 0
		.amdhsa_workgroup_processor_mode 1
		.amdhsa_memory_ordered 1
		.amdhsa_forward_progress 0
		.amdhsa_shared_vgpr_count 0
		.amdhsa_exception_fp_ieee_invalid_op 0
		.amdhsa_exception_fp_denorm_src 0
		.amdhsa_exception_fp_ieee_div_zero 0
		.amdhsa_exception_fp_ieee_overflow 0
		.amdhsa_exception_fp_ieee_underflow 0
		.amdhsa_exception_fp_ieee_inexact 0
		.amdhsa_exception_int_div_zero 0
	.end_amdhsa_kernel
	.section	.text._ZN7rocprim17ROCPRIM_400000_NS6detail17trampoline_kernelINS0_14default_configENS1_22reduce_config_selectorIN6thrust23THRUST_200600_302600_NS5tupleIbffNS6_9null_typeES8_S8_S8_S8_S8_S8_EEEEZNS1_11reduce_implILb1ES3_NS6_11hip_rocprim26transform_input_iterator_tIS9_NS6_12zip_iteratorINS7_INS6_17counting_iteratorIiNS6_11use_defaultESG_SG_EENS6_6detail15normal_iteratorINS6_10device_ptrIfEEEES8_S8_S8_S8_S8_S8_S8_S8_EEEE15transform_tupleIifEEEPS9_S9_12reduce_tupleIifEEE10hipError_tPvRmT1_T2_T3_mT4_P12ihipStream_tbEUlT_E1_NS1_11comp_targetILNS1_3genE9ELNS1_11target_archE1100ELNS1_3gpuE3ELNS1_3repE0EEENS1_30default_config_static_selectorELNS0_4arch9wavefront6targetE0EEEvSY_,"axG",@progbits,_ZN7rocprim17ROCPRIM_400000_NS6detail17trampoline_kernelINS0_14default_configENS1_22reduce_config_selectorIN6thrust23THRUST_200600_302600_NS5tupleIbffNS6_9null_typeES8_S8_S8_S8_S8_S8_EEEEZNS1_11reduce_implILb1ES3_NS6_11hip_rocprim26transform_input_iterator_tIS9_NS6_12zip_iteratorINS7_INS6_17counting_iteratorIiNS6_11use_defaultESG_SG_EENS6_6detail15normal_iteratorINS6_10device_ptrIfEEEES8_S8_S8_S8_S8_S8_S8_S8_EEEE15transform_tupleIifEEEPS9_S9_12reduce_tupleIifEEE10hipError_tPvRmT1_T2_T3_mT4_P12ihipStream_tbEUlT_E1_NS1_11comp_targetILNS1_3genE9ELNS1_11target_archE1100ELNS1_3gpuE3ELNS1_3repE0EEENS1_30default_config_static_selectorELNS0_4arch9wavefront6targetE0EEEvSY_,comdat
.Lfunc_end35:
	.size	_ZN7rocprim17ROCPRIM_400000_NS6detail17trampoline_kernelINS0_14default_configENS1_22reduce_config_selectorIN6thrust23THRUST_200600_302600_NS5tupleIbffNS6_9null_typeES8_S8_S8_S8_S8_S8_EEEEZNS1_11reduce_implILb1ES3_NS6_11hip_rocprim26transform_input_iterator_tIS9_NS6_12zip_iteratorINS7_INS6_17counting_iteratorIiNS6_11use_defaultESG_SG_EENS6_6detail15normal_iteratorINS6_10device_ptrIfEEEES8_S8_S8_S8_S8_S8_S8_S8_EEEE15transform_tupleIifEEEPS9_S9_12reduce_tupleIifEEE10hipError_tPvRmT1_T2_T3_mT4_P12ihipStream_tbEUlT_E1_NS1_11comp_targetILNS1_3genE9ELNS1_11target_archE1100ELNS1_3gpuE3ELNS1_3repE0EEENS1_30default_config_static_selectorELNS0_4arch9wavefront6targetE0EEEvSY_, .Lfunc_end35-_ZN7rocprim17ROCPRIM_400000_NS6detail17trampoline_kernelINS0_14default_configENS1_22reduce_config_selectorIN6thrust23THRUST_200600_302600_NS5tupleIbffNS6_9null_typeES8_S8_S8_S8_S8_S8_EEEEZNS1_11reduce_implILb1ES3_NS6_11hip_rocprim26transform_input_iterator_tIS9_NS6_12zip_iteratorINS7_INS6_17counting_iteratorIiNS6_11use_defaultESG_SG_EENS6_6detail15normal_iteratorINS6_10device_ptrIfEEEES8_S8_S8_S8_S8_S8_S8_S8_EEEE15transform_tupleIifEEEPS9_S9_12reduce_tupleIifEEE10hipError_tPvRmT1_T2_T3_mT4_P12ihipStream_tbEUlT_E1_NS1_11comp_targetILNS1_3genE9ELNS1_11target_archE1100ELNS1_3gpuE3ELNS1_3repE0EEENS1_30default_config_static_selectorELNS0_4arch9wavefront6targetE0EEEvSY_
                                        ; -- End function
	.section	.AMDGPU.csdata,"",@progbits
; Kernel info:
; codeLenInByte = 33700
; NumSgprs: 40
; NumVgprs: 64
; ScratchSize: 0
; MemoryBound: 0
; FloatMode: 240
; IeeeMode: 1
; LDSByteSize: 576 bytes/workgroup (compile time only)
; SGPRBlocks: 4
; VGPRBlocks: 7
; NumSGPRsForWavesPerEU: 40
; NumVGPRsForWavesPerEU: 64
; Occupancy: 16
; WaveLimiterHint : 1
; COMPUTE_PGM_RSRC2:SCRATCH_EN: 0
; COMPUTE_PGM_RSRC2:USER_SGPR: 15
; COMPUTE_PGM_RSRC2:TRAP_HANDLER: 0
; COMPUTE_PGM_RSRC2:TGID_X_EN: 1
; COMPUTE_PGM_RSRC2:TGID_Y_EN: 0
; COMPUTE_PGM_RSRC2:TGID_Z_EN: 0
; COMPUTE_PGM_RSRC2:TIDIG_COMP_CNT: 0
	.section	.text._ZN7rocprim17ROCPRIM_400000_NS6detail17trampoline_kernelINS0_14default_configENS1_22reduce_config_selectorIN6thrust23THRUST_200600_302600_NS5tupleIbffNS6_9null_typeES8_S8_S8_S8_S8_S8_EEEEZNS1_11reduce_implILb1ES3_NS6_11hip_rocprim26transform_input_iterator_tIS9_NS6_12zip_iteratorINS7_INS6_17counting_iteratorIiNS6_11use_defaultESG_SG_EENS6_6detail15normal_iteratorINS6_10device_ptrIfEEEES8_S8_S8_S8_S8_S8_S8_S8_EEEE15transform_tupleIifEEEPS9_S9_12reduce_tupleIifEEE10hipError_tPvRmT1_T2_T3_mT4_P12ihipStream_tbEUlT_E1_NS1_11comp_targetILNS1_3genE8ELNS1_11target_archE1030ELNS1_3gpuE2ELNS1_3repE0EEENS1_30default_config_static_selectorELNS0_4arch9wavefront6targetE0EEEvSY_,"axG",@progbits,_ZN7rocprim17ROCPRIM_400000_NS6detail17trampoline_kernelINS0_14default_configENS1_22reduce_config_selectorIN6thrust23THRUST_200600_302600_NS5tupleIbffNS6_9null_typeES8_S8_S8_S8_S8_S8_EEEEZNS1_11reduce_implILb1ES3_NS6_11hip_rocprim26transform_input_iterator_tIS9_NS6_12zip_iteratorINS7_INS6_17counting_iteratorIiNS6_11use_defaultESG_SG_EENS6_6detail15normal_iteratorINS6_10device_ptrIfEEEES8_S8_S8_S8_S8_S8_S8_S8_EEEE15transform_tupleIifEEEPS9_S9_12reduce_tupleIifEEE10hipError_tPvRmT1_T2_T3_mT4_P12ihipStream_tbEUlT_E1_NS1_11comp_targetILNS1_3genE8ELNS1_11target_archE1030ELNS1_3gpuE2ELNS1_3repE0EEENS1_30default_config_static_selectorELNS0_4arch9wavefront6targetE0EEEvSY_,comdat
	.protected	_ZN7rocprim17ROCPRIM_400000_NS6detail17trampoline_kernelINS0_14default_configENS1_22reduce_config_selectorIN6thrust23THRUST_200600_302600_NS5tupleIbffNS6_9null_typeES8_S8_S8_S8_S8_S8_EEEEZNS1_11reduce_implILb1ES3_NS6_11hip_rocprim26transform_input_iterator_tIS9_NS6_12zip_iteratorINS7_INS6_17counting_iteratorIiNS6_11use_defaultESG_SG_EENS6_6detail15normal_iteratorINS6_10device_ptrIfEEEES8_S8_S8_S8_S8_S8_S8_S8_EEEE15transform_tupleIifEEEPS9_S9_12reduce_tupleIifEEE10hipError_tPvRmT1_T2_T3_mT4_P12ihipStream_tbEUlT_E1_NS1_11comp_targetILNS1_3genE8ELNS1_11target_archE1030ELNS1_3gpuE2ELNS1_3repE0EEENS1_30default_config_static_selectorELNS0_4arch9wavefront6targetE0EEEvSY_ ; -- Begin function _ZN7rocprim17ROCPRIM_400000_NS6detail17trampoline_kernelINS0_14default_configENS1_22reduce_config_selectorIN6thrust23THRUST_200600_302600_NS5tupleIbffNS6_9null_typeES8_S8_S8_S8_S8_S8_EEEEZNS1_11reduce_implILb1ES3_NS6_11hip_rocprim26transform_input_iterator_tIS9_NS6_12zip_iteratorINS7_INS6_17counting_iteratorIiNS6_11use_defaultESG_SG_EENS6_6detail15normal_iteratorINS6_10device_ptrIfEEEES8_S8_S8_S8_S8_S8_S8_S8_EEEE15transform_tupleIifEEEPS9_S9_12reduce_tupleIifEEE10hipError_tPvRmT1_T2_T3_mT4_P12ihipStream_tbEUlT_E1_NS1_11comp_targetILNS1_3genE8ELNS1_11target_archE1030ELNS1_3gpuE2ELNS1_3repE0EEENS1_30default_config_static_selectorELNS0_4arch9wavefront6targetE0EEEvSY_
	.globl	_ZN7rocprim17ROCPRIM_400000_NS6detail17trampoline_kernelINS0_14default_configENS1_22reduce_config_selectorIN6thrust23THRUST_200600_302600_NS5tupleIbffNS6_9null_typeES8_S8_S8_S8_S8_S8_EEEEZNS1_11reduce_implILb1ES3_NS6_11hip_rocprim26transform_input_iterator_tIS9_NS6_12zip_iteratorINS7_INS6_17counting_iteratorIiNS6_11use_defaultESG_SG_EENS6_6detail15normal_iteratorINS6_10device_ptrIfEEEES8_S8_S8_S8_S8_S8_S8_S8_EEEE15transform_tupleIifEEEPS9_S9_12reduce_tupleIifEEE10hipError_tPvRmT1_T2_T3_mT4_P12ihipStream_tbEUlT_E1_NS1_11comp_targetILNS1_3genE8ELNS1_11target_archE1030ELNS1_3gpuE2ELNS1_3repE0EEENS1_30default_config_static_selectorELNS0_4arch9wavefront6targetE0EEEvSY_
	.p2align	8
	.type	_ZN7rocprim17ROCPRIM_400000_NS6detail17trampoline_kernelINS0_14default_configENS1_22reduce_config_selectorIN6thrust23THRUST_200600_302600_NS5tupleIbffNS6_9null_typeES8_S8_S8_S8_S8_S8_EEEEZNS1_11reduce_implILb1ES3_NS6_11hip_rocprim26transform_input_iterator_tIS9_NS6_12zip_iteratorINS7_INS6_17counting_iteratorIiNS6_11use_defaultESG_SG_EENS6_6detail15normal_iteratorINS6_10device_ptrIfEEEES8_S8_S8_S8_S8_S8_S8_S8_EEEE15transform_tupleIifEEEPS9_S9_12reduce_tupleIifEEE10hipError_tPvRmT1_T2_T3_mT4_P12ihipStream_tbEUlT_E1_NS1_11comp_targetILNS1_3genE8ELNS1_11target_archE1030ELNS1_3gpuE2ELNS1_3repE0EEENS1_30default_config_static_selectorELNS0_4arch9wavefront6targetE0EEEvSY_,@function
_ZN7rocprim17ROCPRIM_400000_NS6detail17trampoline_kernelINS0_14default_configENS1_22reduce_config_selectorIN6thrust23THRUST_200600_302600_NS5tupleIbffNS6_9null_typeES8_S8_S8_S8_S8_S8_EEEEZNS1_11reduce_implILb1ES3_NS6_11hip_rocprim26transform_input_iterator_tIS9_NS6_12zip_iteratorINS7_INS6_17counting_iteratorIiNS6_11use_defaultESG_SG_EENS6_6detail15normal_iteratorINS6_10device_ptrIfEEEES8_S8_S8_S8_S8_S8_S8_S8_EEEE15transform_tupleIifEEEPS9_S9_12reduce_tupleIifEEE10hipError_tPvRmT1_T2_T3_mT4_P12ihipStream_tbEUlT_E1_NS1_11comp_targetILNS1_3genE8ELNS1_11target_archE1030ELNS1_3gpuE2ELNS1_3repE0EEENS1_30default_config_static_selectorELNS0_4arch9wavefront6targetE0EEEvSY_: ; @_ZN7rocprim17ROCPRIM_400000_NS6detail17trampoline_kernelINS0_14default_configENS1_22reduce_config_selectorIN6thrust23THRUST_200600_302600_NS5tupleIbffNS6_9null_typeES8_S8_S8_S8_S8_S8_EEEEZNS1_11reduce_implILb1ES3_NS6_11hip_rocprim26transform_input_iterator_tIS9_NS6_12zip_iteratorINS7_INS6_17counting_iteratorIiNS6_11use_defaultESG_SG_EENS6_6detail15normal_iteratorINS6_10device_ptrIfEEEES8_S8_S8_S8_S8_S8_S8_S8_EEEE15transform_tupleIifEEEPS9_S9_12reduce_tupleIifEEE10hipError_tPvRmT1_T2_T3_mT4_P12ihipStream_tbEUlT_E1_NS1_11comp_targetILNS1_3genE8ELNS1_11target_archE1030ELNS1_3gpuE2ELNS1_3repE0EEENS1_30default_config_static_selectorELNS0_4arch9wavefront6targetE0EEEvSY_
; %bb.0:
	.section	.rodata,"a",@progbits
	.p2align	6, 0x0
	.amdhsa_kernel _ZN7rocprim17ROCPRIM_400000_NS6detail17trampoline_kernelINS0_14default_configENS1_22reduce_config_selectorIN6thrust23THRUST_200600_302600_NS5tupleIbffNS6_9null_typeES8_S8_S8_S8_S8_S8_EEEEZNS1_11reduce_implILb1ES3_NS6_11hip_rocprim26transform_input_iterator_tIS9_NS6_12zip_iteratorINS7_INS6_17counting_iteratorIiNS6_11use_defaultESG_SG_EENS6_6detail15normal_iteratorINS6_10device_ptrIfEEEES8_S8_S8_S8_S8_S8_S8_S8_EEEE15transform_tupleIifEEEPS9_S9_12reduce_tupleIifEEE10hipError_tPvRmT1_T2_T3_mT4_P12ihipStream_tbEUlT_E1_NS1_11comp_targetILNS1_3genE8ELNS1_11target_archE1030ELNS1_3gpuE2ELNS1_3repE0EEENS1_30default_config_static_selectorELNS0_4arch9wavefront6targetE0EEEvSY_
		.amdhsa_group_segment_fixed_size 0
		.amdhsa_private_segment_fixed_size 0
		.amdhsa_kernarg_size 64
		.amdhsa_user_sgpr_count 15
		.amdhsa_user_sgpr_dispatch_ptr 0
		.amdhsa_user_sgpr_queue_ptr 0
		.amdhsa_user_sgpr_kernarg_segment_ptr 1
		.amdhsa_user_sgpr_dispatch_id 0
		.amdhsa_user_sgpr_private_segment_size 0
		.amdhsa_wavefront_size32 1
		.amdhsa_uses_dynamic_stack 0
		.amdhsa_enable_private_segment 0
		.amdhsa_system_sgpr_workgroup_id_x 1
		.amdhsa_system_sgpr_workgroup_id_y 0
		.amdhsa_system_sgpr_workgroup_id_z 0
		.amdhsa_system_sgpr_workgroup_info 0
		.amdhsa_system_vgpr_workitem_id 0
		.amdhsa_next_free_vgpr 1
		.amdhsa_next_free_sgpr 1
		.amdhsa_reserve_vcc 0
		.amdhsa_float_round_mode_32 0
		.amdhsa_float_round_mode_16_64 0
		.amdhsa_float_denorm_mode_32 3
		.amdhsa_float_denorm_mode_16_64 3
		.amdhsa_dx10_clamp 1
		.amdhsa_ieee_mode 1
		.amdhsa_fp16_overflow 0
		.amdhsa_workgroup_processor_mode 1
		.amdhsa_memory_ordered 1
		.amdhsa_forward_progress 0
		.amdhsa_shared_vgpr_count 0
		.amdhsa_exception_fp_ieee_invalid_op 0
		.amdhsa_exception_fp_denorm_src 0
		.amdhsa_exception_fp_ieee_div_zero 0
		.amdhsa_exception_fp_ieee_overflow 0
		.amdhsa_exception_fp_ieee_underflow 0
		.amdhsa_exception_fp_ieee_inexact 0
		.amdhsa_exception_int_div_zero 0
	.end_amdhsa_kernel
	.section	.text._ZN7rocprim17ROCPRIM_400000_NS6detail17trampoline_kernelINS0_14default_configENS1_22reduce_config_selectorIN6thrust23THRUST_200600_302600_NS5tupleIbffNS6_9null_typeES8_S8_S8_S8_S8_S8_EEEEZNS1_11reduce_implILb1ES3_NS6_11hip_rocprim26transform_input_iterator_tIS9_NS6_12zip_iteratorINS7_INS6_17counting_iteratorIiNS6_11use_defaultESG_SG_EENS6_6detail15normal_iteratorINS6_10device_ptrIfEEEES8_S8_S8_S8_S8_S8_S8_S8_EEEE15transform_tupleIifEEEPS9_S9_12reduce_tupleIifEEE10hipError_tPvRmT1_T2_T3_mT4_P12ihipStream_tbEUlT_E1_NS1_11comp_targetILNS1_3genE8ELNS1_11target_archE1030ELNS1_3gpuE2ELNS1_3repE0EEENS1_30default_config_static_selectorELNS0_4arch9wavefront6targetE0EEEvSY_,"axG",@progbits,_ZN7rocprim17ROCPRIM_400000_NS6detail17trampoline_kernelINS0_14default_configENS1_22reduce_config_selectorIN6thrust23THRUST_200600_302600_NS5tupleIbffNS6_9null_typeES8_S8_S8_S8_S8_S8_EEEEZNS1_11reduce_implILb1ES3_NS6_11hip_rocprim26transform_input_iterator_tIS9_NS6_12zip_iteratorINS7_INS6_17counting_iteratorIiNS6_11use_defaultESG_SG_EENS6_6detail15normal_iteratorINS6_10device_ptrIfEEEES8_S8_S8_S8_S8_S8_S8_S8_EEEE15transform_tupleIifEEEPS9_S9_12reduce_tupleIifEEE10hipError_tPvRmT1_T2_T3_mT4_P12ihipStream_tbEUlT_E1_NS1_11comp_targetILNS1_3genE8ELNS1_11target_archE1030ELNS1_3gpuE2ELNS1_3repE0EEENS1_30default_config_static_selectorELNS0_4arch9wavefront6targetE0EEEvSY_,comdat
.Lfunc_end36:
	.size	_ZN7rocprim17ROCPRIM_400000_NS6detail17trampoline_kernelINS0_14default_configENS1_22reduce_config_selectorIN6thrust23THRUST_200600_302600_NS5tupleIbffNS6_9null_typeES8_S8_S8_S8_S8_S8_EEEEZNS1_11reduce_implILb1ES3_NS6_11hip_rocprim26transform_input_iterator_tIS9_NS6_12zip_iteratorINS7_INS6_17counting_iteratorIiNS6_11use_defaultESG_SG_EENS6_6detail15normal_iteratorINS6_10device_ptrIfEEEES8_S8_S8_S8_S8_S8_S8_S8_EEEE15transform_tupleIifEEEPS9_S9_12reduce_tupleIifEEE10hipError_tPvRmT1_T2_T3_mT4_P12ihipStream_tbEUlT_E1_NS1_11comp_targetILNS1_3genE8ELNS1_11target_archE1030ELNS1_3gpuE2ELNS1_3repE0EEENS1_30default_config_static_selectorELNS0_4arch9wavefront6targetE0EEEvSY_, .Lfunc_end36-_ZN7rocprim17ROCPRIM_400000_NS6detail17trampoline_kernelINS0_14default_configENS1_22reduce_config_selectorIN6thrust23THRUST_200600_302600_NS5tupleIbffNS6_9null_typeES8_S8_S8_S8_S8_S8_EEEEZNS1_11reduce_implILb1ES3_NS6_11hip_rocprim26transform_input_iterator_tIS9_NS6_12zip_iteratorINS7_INS6_17counting_iteratorIiNS6_11use_defaultESG_SG_EENS6_6detail15normal_iteratorINS6_10device_ptrIfEEEES8_S8_S8_S8_S8_S8_S8_S8_EEEE15transform_tupleIifEEEPS9_S9_12reduce_tupleIifEEE10hipError_tPvRmT1_T2_T3_mT4_P12ihipStream_tbEUlT_E1_NS1_11comp_targetILNS1_3genE8ELNS1_11target_archE1030ELNS1_3gpuE2ELNS1_3repE0EEENS1_30default_config_static_selectorELNS0_4arch9wavefront6targetE0EEEvSY_
                                        ; -- End function
	.section	.AMDGPU.csdata,"",@progbits
; Kernel info:
; codeLenInByte = 0
; NumSgprs: 0
; NumVgprs: 0
; ScratchSize: 0
; MemoryBound: 0
; FloatMode: 240
; IeeeMode: 1
; LDSByteSize: 0 bytes/workgroup (compile time only)
; SGPRBlocks: 0
; VGPRBlocks: 0
; NumSGPRsForWavesPerEU: 1
; NumVGPRsForWavesPerEU: 1
; Occupancy: 16
; WaveLimiterHint : 0
; COMPUTE_PGM_RSRC2:SCRATCH_EN: 0
; COMPUTE_PGM_RSRC2:USER_SGPR: 15
; COMPUTE_PGM_RSRC2:TRAP_HANDLER: 0
; COMPUTE_PGM_RSRC2:TGID_X_EN: 1
; COMPUTE_PGM_RSRC2:TGID_Y_EN: 0
; COMPUTE_PGM_RSRC2:TGID_Z_EN: 0
; COMPUTE_PGM_RSRC2:TIDIG_COMP_CNT: 0
	.section	.text._ZN6thrust23THRUST_200600_302600_NS11hip_rocprim14__parallel_for6kernelILj256ENS1_10for_each_fINS0_7pointerINS0_5tupleIbffNS0_9null_typeES7_S7_S7_S7_S7_S7_EENS1_3tagENS0_11use_defaultESA_EENS0_6detail16wrapped_functionINSC_23allocator_traits_detail24construct1_via_allocatorINSC_18no_throw_allocatorINSC_19temporary_allocatorIS8_S9_EEEEEEvEEEEmLj1EEEvT0_T1_SO_,"axG",@progbits,_ZN6thrust23THRUST_200600_302600_NS11hip_rocprim14__parallel_for6kernelILj256ENS1_10for_each_fINS0_7pointerINS0_5tupleIbffNS0_9null_typeES7_S7_S7_S7_S7_S7_EENS1_3tagENS0_11use_defaultESA_EENS0_6detail16wrapped_functionINSC_23allocator_traits_detail24construct1_via_allocatorINSC_18no_throw_allocatorINSC_19temporary_allocatorIS8_S9_EEEEEEvEEEEmLj1EEEvT0_T1_SO_,comdat
	.protected	_ZN6thrust23THRUST_200600_302600_NS11hip_rocprim14__parallel_for6kernelILj256ENS1_10for_each_fINS0_7pointerINS0_5tupleIbffNS0_9null_typeES7_S7_S7_S7_S7_S7_EENS1_3tagENS0_11use_defaultESA_EENS0_6detail16wrapped_functionINSC_23allocator_traits_detail24construct1_via_allocatorINSC_18no_throw_allocatorINSC_19temporary_allocatorIS8_S9_EEEEEEvEEEEmLj1EEEvT0_T1_SO_ ; -- Begin function _ZN6thrust23THRUST_200600_302600_NS11hip_rocprim14__parallel_for6kernelILj256ENS1_10for_each_fINS0_7pointerINS0_5tupleIbffNS0_9null_typeES7_S7_S7_S7_S7_S7_EENS1_3tagENS0_11use_defaultESA_EENS0_6detail16wrapped_functionINSC_23allocator_traits_detail24construct1_via_allocatorINSC_18no_throw_allocatorINSC_19temporary_allocatorIS8_S9_EEEEEEvEEEEmLj1EEEvT0_T1_SO_
	.globl	_ZN6thrust23THRUST_200600_302600_NS11hip_rocprim14__parallel_for6kernelILj256ENS1_10for_each_fINS0_7pointerINS0_5tupleIbffNS0_9null_typeES7_S7_S7_S7_S7_S7_EENS1_3tagENS0_11use_defaultESA_EENS0_6detail16wrapped_functionINSC_23allocator_traits_detail24construct1_via_allocatorINSC_18no_throw_allocatorINSC_19temporary_allocatorIS8_S9_EEEEEEvEEEEmLj1EEEvT0_T1_SO_
	.p2align	8
	.type	_ZN6thrust23THRUST_200600_302600_NS11hip_rocprim14__parallel_for6kernelILj256ENS1_10for_each_fINS0_7pointerINS0_5tupleIbffNS0_9null_typeES7_S7_S7_S7_S7_S7_EENS1_3tagENS0_11use_defaultESA_EENS0_6detail16wrapped_functionINSC_23allocator_traits_detail24construct1_via_allocatorINSC_18no_throw_allocatorINSC_19temporary_allocatorIS8_S9_EEEEEEvEEEEmLj1EEEvT0_T1_SO_,@function
_ZN6thrust23THRUST_200600_302600_NS11hip_rocprim14__parallel_for6kernelILj256ENS1_10for_each_fINS0_7pointerINS0_5tupleIbffNS0_9null_typeES7_S7_S7_S7_S7_S7_EENS1_3tagENS0_11use_defaultESA_EENS0_6detail16wrapped_functionINSC_23allocator_traits_detail24construct1_via_allocatorINSC_18no_throw_allocatorINSC_19temporary_allocatorIS8_S9_EEEEEEvEEEEmLj1EEEvT0_T1_SO_: ; @_ZN6thrust23THRUST_200600_302600_NS11hip_rocprim14__parallel_for6kernelILj256ENS1_10for_each_fINS0_7pointerINS0_5tupleIbffNS0_9null_typeES7_S7_S7_S7_S7_S7_EENS1_3tagENS0_11use_defaultESA_EENS0_6detail16wrapped_functionINSC_23allocator_traits_detail24construct1_via_allocatorINSC_18no_throw_allocatorINSC_19temporary_allocatorIS8_S9_EEEEEEvEEEEmLj1EEEvT0_T1_SO_
; %bb.0:
	s_clause 0x1
	s_load_b128 s[8:11], s[0:1], 0x10
	s_load_b64 s[0:1], s[0:1], 0x0
	s_lshl_b32 s2, s15, 8
	s_waitcnt lgkmcnt(0)
	s_add_u32 s4, s2, s10
	s_addc_u32 s5, 0, s11
	s_sub_u32 s2, s8, s4
	s_subb_u32 s3, s9, s5
	s_delay_alu instid0(SALU_CYCLE_1) | instskip(NEXT) | instid1(VALU_DEP_1)
	v_cmp_gt_u64_e64 s3, 0x100, s[2:3]
	s_and_b32 vcc_lo, exec_lo, s3
	s_mov_b32 s3, 0
	s_cbranch_vccz .LBB37_4
; %bb.1:
	v_cmp_gt_u32_e32 vcc_lo, s2, v0
	s_mov_b32 s2, 0
                                        ; implicit-def: $vgpr1_vgpr2
	s_and_saveexec_b32 s6, vcc_lo
	s_delay_alu instid0(SALU_CYCLE_1)
	s_xor_b32 s6, exec_lo, s6
	s_cbranch_execz .LBB37_3
; %bb.2:
	s_mul_i32 s7, s5, 12
	s_mul_hi_u32 s8, s4, 12
	s_mul_i32 s9, s4, 12
	s_add_i32 s7, s8, s7
	s_add_u32 s8, s0, s9
	s_addc_u32 s9, s1, s7
	v_mov_b32_e32 v3, 0
	v_mad_u64_u32 v[1:2], null, v0, 12, s[8:9]
	s_mov_b32 s3, exec_lo
	flat_store_b8 v[1:2], v3
.LBB37_3:
	s_or_b32 exec_lo, exec_lo, s6
	s_delay_alu instid0(SALU_CYCLE_1)
	s_and_b32 vcc_lo, exec_lo, s2
	s_cbranch_vccnz .LBB37_5
	s_branch .LBB37_6
.LBB37_4:
                                        ; implicit-def: $vgpr1_vgpr2
	s_cbranch_execz .LBB37_6
.LBB37_5:
	s_mul_i32 s5, s5, 12
	s_mul_hi_u32 s2, s4, 12
	s_mul_i32 s4, s4, 12
	s_add_i32 s2, s2, s5
	s_add_u32 s0, s0, s4
	s_addc_u32 s1, s1, s2
	s_or_b32 s3, s3, exec_lo
	v_mad_u64_u32 v[1:2], null, v0, 12, s[0:1]
	v_mov_b32_e32 v0, 0
	flat_store_b8 v[1:2], v0
.LBB37_6:
	s_and_saveexec_b32 s0, s3
	s_cbranch_execnz .LBB37_8
; %bb.7:
	s_endpgm
.LBB37_8:
	v_mov_b32_e32 v3, 0
	s_delay_alu instid0(VALU_DEP_1)
	v_mov_b32_e32 v4, v3
	flat_store_b64 v[1:2], v[3:4] offset:4
	s_endpgm
	.section	.rodata,"a",@progbits
	.p2align	6, 0x0
	.amdhsa_kernel _ZN6thrust23THRUST_200600_302600_NS11hip_rocprim14__parallel_for6kernelILj256ENS1_10for_each_fINS0_7pointerINS0_5tupleIbffNS0_9null_typeES7_S7_S7_S7_S7_S7_EENS1_3tagENS0_11use_defaultESA_EENS0_6detail16wrapped_functionINSC_23allocator_traits_detail24construct1_via_allocatorINSC_18no_throw_allocatorINSC_19temporary_allocatorIS8_S9_EEEEEEvEEEEmLj1EEEvT0_T1_SO_
		.amdhsa_group_segment_fixed_size 0
		.amdhsa_private_segment_fixed_size 0
		.amdhsa_kernarg_size 32
		.amdhsa_user_sgpr_count 15
		.amdhsa_user_sgpr_dispatch_ptr 0
		.amdhsa_user_sgpr_queue_ptr 0
		.amdhsa_user_sgpr_kernarg_segment_ptr 1
		.amdhsa_user_sgpr_dispatch_id 0
		.amdhsa_user_sgpr_private_segment_size 0
		.amdhsa_wavefront_size32 1
		.amdhsa_uses_dynamic_stack 0
		.amdhsa_enable_private_segment 0
		.amdhsa_system_sgpr_workgroup_id_x 1
		.amdhsa_system_sgpr_workgroup_id_y 0
		.amdhsa_system_sgpr_workgroup_id_z 0
		.amdhsa_system_sgpr_workgroup_info 0
		.amdhsa_system_vgpr_workitem_id 0
		.amdhsa_next_free_vgpr 5
		.amdhsa_next_free_sgpr 16
		.amdhsa_reserve_vcc 1
		.amdhsa_float_round_mode_32 0
		.amdhsa_float_round_mode_16_64 0
		.amdhsa_float_denorm_mode_32 3
		.amdhsa_float_denorm_mode_16_64 3
		.amdhsa_dx10_clamp 1
		.amdhsa_ieee_mode 1
		.amdhsa_fp16_overflow 0
		.amdhsa_workgroup_processor_mode 1
		.amdhsa_memory_ordered 1
		.amdhsa_forward_progress 0
		.amdhsa_shared_vgpr_count 0
		.amdhsa_exception_fp_ieee_invalid_op 0
		.amdhsa_exception_fp_denorm_src 0
		.amdhsa_exception_fp_ieee_div_zero 0
		.amdhsa_exception_fp_ieee_overflow 0
		.amdhsa_exception_fp_ieee_underflow 0
		.amdhsa_exception_fp_ieee_inexact 0
		.amdhsa_exception_int_div_zero 0
	.end_amdhsa_kernel
	.section	.text._ZN6thrust23THRUST_200600_302600_NS11hip_rocprim14__parallel_for6kernelILj256ENS1_10for_each_fINS0_7pointerINS0_5tupleIbffNS0_9null_typeES7_S7_S7_S7_S7_S7_EENS1_3tagENS0_11use_defaultESA_EENS0_6detail16wrapped_functionINSC_23allocator_traits_detail24construct1_via_allocatorINSC_18no_throw_allocatorINSC_19temporary_allocatorIS8_S9_EEEEEEvEEEEmLj1EEEvT0_T1_SO_,"axG",@progbits,_ZN6thrust23THRUST_200600_302600_NS11hip_rocprim14__parallel_for6kernelILj256ENS1_10for_each_fINS0_7pointerINS0_5tupleIbffNS0_9null_typeES7_S7_S7_S7_S7_S7_EENS1_3tagENS0_11use_defaultESA_EENS0_6detail16wrapped_functionINSC_23allocator_traits_detail24construct1_via_allocatorINSC_18no_throw_allocatorINSC_19temporary_allocatorIS8_S9_EEEEEEvEEEEmLj1EEEvT0_T1_SO_,comdat
.Lfunc_end37:
	.size	_ZN6thrust23THRUST_200600_302600_NS11hip_rocprim14__parallel_for6kernelILj256ENS1_10for_each_fINS0_7pointerINS0_5tupleIbffNS0_9null_typeES7_S7_S7_S7_S7_S7_EENS1_3tagENS0_11use_defaultESA_EENS0_6detail16wrapped_functionINSC_23allocator_traits_detail24construct1_via_allocatorINSC_18no_throw_allocatorINSC_19temporary_allocatorIS8_S9_EEEEEEvEEEEmLj1EEEvT0_T1_SO_, .Lfunc_end37-_ZN6thrust23THRUST_200600_302600_NS11hip_rocprim14__parallel_for6kernelILj256ENS1_10for_each_fINS0_7pointerINS0_5tupleIbffNS0_9null_typeES7_S7_S7_S7_S7_S7_EENS1_3tagENS0_11use_defaultESA_EENS0_6detail16wrapped_functionINSC_23allocator_traits_detail24construct1_via_allocatorINSC_18no_throw_allocatorINSC_19temporary_allocatorIS8_S9_EEEEEEvEEEEmLj1EEEvT0_T1_SO_
                                        ; -- End function
	.section	.AMDGPU.csdata,"",@progbits
; Kernel info:
; codeLenInByte = 252
; NumSgprs: 18
; NumVgprs: 5
; ScratchSize: 0
; MemoryBound: 0
; FloatMode: 240
; IeeeMode: 1
; LDSByteSize: 0 bytes/workgroup (compile time only)
; SGPRBlocks: 2
; VGPRBlocks: 0
; NumSGPRsForWavesPerEU: 18
; NumVGPRsForWavesPerEU: 5
; Occupancy: 16
; WaveLimiterHint : 0
; COMPUTE_PGM_RSRC2:SCRATCH_EN: 0
; COMPUTE_PGM_RSRC2:USER_SGPR: 15
; COMPUTE_PGM_RSRC2:TRAP_HANDLER: 0
; COMPUTE_PGM_RSRC2:TGID_X_EN: 1
; COMPUTE_PGM_RSRC2:TGID_Y_EN: 0
; COMPUTE_PGM_RSRC2:TGID_Z_EN: 0
; COMPUTE_PGM_RSRC2:TIDIG_COMP_CNT: 0
	.section	.text._ZN6thrust23THRUST_200600_302600_NS11hip_rocprim14__parallel_for6kernelILj256ENS1_10for_each_fINS0_7pointerINS0_5tupleIbffNS0_9null_typeES7_S7_S7_S7_S7_S7_EENS1_3tagENS0_11use_defaultESA_EENS0_6detail16wrapped_functionINSC_23allocator_traits_detail5gozerEvEEEElLj1EEEvT0_T1_SJ_,"axG",@progbits,_ZN6thrust23THRUST_200600_302600_NS11hip_rocprim14__parallel_for6kernelILj256ENS1_10for_each_fINS0_7pointerINS0_5tupleIbffNS0_9null_typeES7_S7_S7_S7_S7_S7_EENS1_3tagENS0_11use_defaultESA_EENS0_6detail16wrapped_functionINSC_23allocator_traits_detail5gozerEvEEEElLj1EEEvT0_T1_SJ_,comdat
	.protected	_ZN6thrust23THRUST_200600_302600_NS11hip_rocprim14__parallel_for6kernelILj256ENS1_10for_each_fINS0_7pointerINS0_5tupleIbffNS0_9null_typeES7_S7_S7_S7_S7_S7_EENS1_3tagENS0_11use_defaultESA_EENS0_6detail16wrapped_functionINSC_23allocator_traits_detail5gozerEvEEEElLj1EEEvT0_T1_SJ_ ; -- Begin function _ZN6thrust23THRUST_200600_302600_NS11hip_rocprim14__parallel_for6kernelILj256ENS1_10for_each_fINS0_7pointerINS0_5tupleIbffNS0_9null_typeES7_S7_S7_S7_S7_S7_EENS1_3tagENS0_11use_defaultESA_EENS0_6detail16wrapped_functionINSC_23allocator_traits_detail5gozerEvEEEElLj1EEEvT0_T1_SJ_
	.globl	_ZN6thrust23THRUST_200600_302600_NS11hip_rocprim14__parallel_for6kernelILj256ENS1_10for_each_fINS0_7pointerINS0_5tupleIbffNS0_9null_typeES7_S7_S7_S7_S7_S7_EENS1_3tagENS0_11use_defaultESA_EENS0_6detail16wrapped_functionINSC_23allocator_traits_detail5gozerEvEEEElLj1EEEvT0_T1_SJ_
	.p2align	8
	.type	_ZN6thrust23THRUST_200600_302600_NS11hip_rocprim14__parallel_for6kernelILj256ENS1_10for_each_fINS0_7pointerINS0_5tupleIbffNS0_9null_typeES7_S7_S7_S7_S7_S7_EENS1_3tagENS0_11use_defaultESA_EENS0_6detail16wrapped_functionINSC_23allocator_traits_detail5gozerEvEEEElLj1EEEvT0_T1_SJ_,@function
_ZN6thrust23THRUST_200600_302600_NS11hip_rocprim14__parallel_for6kernelILj256ENS1_10for_each_fINS0_7pointerINS0_5tupleIbffNS0_9null_typeES7_S7_S7_S7_S7_S7_EENS1_3tagENS0_11use_defaultESA_EENS0_6detail16wrapped_functionINSC_23allocator_traits_detail5gozerEvEEEElLj1EEEvT0_T1_SJ_: ; @_ZN6thrust23THRUST_200600_302600_NS11hip_rocprim14__parallel_for6kernelILj256ENS1_10for_each_fINS0_7pointerINS0_5tupleIbffNS0_9null_typeES7_S7_S7_S7_S7_S7_EENS1_3tagENS0_11use_defaultESA_EENS0_6detail16wrapped_functionINSC_23allocator_traits_detail5gozerEvEEEElLj1EEEvT0_T1_SJ_
; %bb.0:
	s_endpgm
	.section	.rodata,"a",@progbits
	.p2align	6, 0x0
	.amdhsa_kernel _ZN6thrust23THRUST_200600_302600_NS11hip_rocprim14__parallel_for6kernelILj256ENS1_10for_each_fINS0_7pointerINS0_5tupleIbffNS0_9null_typeES7_S7_S7_S7_S7_S7_EENS1_3tagENS0_11use_defaultESA_EENS0_6detail16wrapped_functionINSC_23allocator_traits_detail5gozerEvEEEElLj1EEEvT0_T1_SJ_
		.amdhsa_group_segment_fixed_size 0
		.amdhsa_private_segment_fixed_size 0
		.amdhsa_kernarg_size 32
		.amdhsa_user_sgpr_count 15
		.amdhsa_user_sgpr_dispatch_ptr 0
		.amdhsa_user_sgpr_queue_ptr 0
		.amdhsa_user_sgpr_kernarg_segment_ptr 1
		.amdhsa_user_sgpr_dispatch_id 0
		.amdhsa_user_sgpr_private_segment_size 0
		.amdhsa_wavefront_size32 1
		.amdhsa_uses_dynamic_stack 0
		.amdhsa_enable_private_segment 0
		.amdhsa_system_sgpr_workgroup_id_x 1
		.amdhsa_system_sgpr_workgroup_id_y 0
		.amdhsa_system_sgpr_workgroup_id_z 0
		.amdhsa_system_sgpr_workgroup_info 0
		.amdhsa_system_vgpr_workitem_id 0
		.amdhsa_next_free_vgpr 1
		.amdhsa_next_free_sgpr 1
		.amdhsa_reserve_vcc 0
		.amdhsa_float_round_mode_32 0
		.amdhsa_float_round_mode_16_64 0
		.amdhsa_float_denorm_mode_32 3
		.amdhsa_float_denorm_mode_16_64 3
		.amdhsa_dx10_clamp 1
		.amdhsa_ieee_mode 1
		.amdhsa_fp16_overflow 0
		.amdhsa_workgroup_processor_mode 1
		.amdhsa_memory_ordered 1
		.amdhsa_forward_progress 0
		.amdhsa_shared_vgpr_count 0
		.amdhsa_exception_fp_ieee_invalid_op 0
		.amdhsa_exception_fp_denorm_src 0
		.amdhsa_exception_fp_ieee_div_zero 0
		.amdhsa_exception_fp_ieee_overflow 0
		.amdhsa_exception_fp_ieee_underflow 0
		.amdhsa_exception_fp_ieee_inexact 0
		.amdhsa_exception_int_div_zero 0
	.end_amdhsa_kernel
	.section	.text._ZN6thrust23THRUST_200600_302600_NS11hip_rocprim14__parallel_for6kernelILj256ENS1_10for_each_fINS0_7pointerINS0_5tupleIbffNS0_9null_typeES7_S7_S7_S7_S7_S7_EENS1_3tagENS0_11use_defaultESA_EENS0_6detail16wrapped_functionINSC_23allocator_traits_detail5gozerEvEEEElLj1EEEvT0_T1_SJ_,"axG",@progbits,_ZN6thrust23THRUST_200600_302600_NS11hip_rocprim14__parallel_for6kernelILj256ENS1_10for_each_fINS0_7pointerINS0_5tupleIbffNS0_9null_typeES7_S7_S7_S7_S7_S7_EENS1_3tagENS0_11use_defaultESA_EENS0_6detail16wrapped_functionINSC_23allocator_traits_detail5gozerEvEEEElLj1EEEvT0_T1_SJ_,comdat
.Lfunc_end38:
	.size	_ZN6thrust23THRUST_200600_302600_NS11hip_rocprim14__parallel_for6kernelILj256ENS1_10for_each_fINS0_7pointerINS0_5tupleIbffNS0_9null_typeES7_S7_S7_S7_S7_S7_EENS1_3tagENS0_11use_defaultESA_EENS0_6detail16wrapped_functionINSC_23allocator_traits_detail5gozerEvEEEElLj1EEEvT0_T1_SJ_, .Lfunc_end38-_ZN6thrust23THRUST_200600_302600_NS11hip_rocprim14__parallel_for6kernelILj256ENS1_10for_each_fINS0_7pointerINS0_5tupleIbffNS0_9null_typeES7_S7_S7_S7_S7_S7_EENS1_3tagENS0_11use_defaultESA_EENS0_6detail16wrapped_functionINSC_23allocator_traits_detail5gozerEvEEEElLj1EEEvT0_T1_SJ_
                                        ; -- End function
	.section	.AMDGPU.csdata,"",@progbits
; Kernel info:
; codeLenInByte = 4
; NumSgprs: 0
; NumVgprs: 0
; ScratchSize: 0
; MemoryBound: 0
; FloatMode: 240
; IeeeMode: 1
; LDSByteSize: 0 bytes/workgroup (compile time only)
; SGPRBlocks: 0
; VGPRBlocks: 0
; NumSGPRsForWavesPerEU: 1
; NumVGPRsForWavesPerEU: 1
; Occupancy: 16
; WaveLimiterHint : 0
; COMPUTE_PGM_RSRC2:SCRATCH_EN: 0
; COMPUTE_PGM_RSRC2:USER_SGPR: 15
; COMPUTE_PGM_RSRC2:TRAP_HANDLER: 0
; COMPUTE_PGM_RSRC2:TGID_X_EN: 1
; COMPUTE_PGM_RSRC2:TGID_Y_EN: 0
; COMPUTE_PGM_RSRC2:TGID_Z_EN: 0
; COMPUTE_PGM_RSRC2:TIDIG_COMP_CNT: 0
	.section	.text._ZN6thrust23THRUST_200600_302600_NS11hip_rocprim14__parallel_for6kernelILj256ENS1_20__uninitialized_copy7functorIPNS0_5tupleIbffNS0_9null_typeES7_S7_S7_S7_S7_S7_EENS0_7pointerIS8_NS1_3tagENS0_11use_defaultESC_EEEEmLj1EEEvT0_T1_SG_,"axG",@progbits,_ZN6thrust23THRUST_200600_302600_NS11hip_rocprim14__parallel_for6kernelILj256ENS1_20__uninitialized_copy7functorIPNS0_5tupleIbffNS0_9null_typeES7_S7_S7_S7_S7_S7_EENS0_7pointerIS8_NS1_3tagENS0_11use_defaultESC_EEEEmLj1EEEvT0_T1_SG_,comdat
	.protected	_ZN6thrust23THRUST_200600_302600_NS11hip_rocprim14__parallel_for6kernelILj256ENS1_20__uninitialized_copy7functorIPNS0_5tupleIbffNS0_9null_typeES7_S7_S7_S7_S7_S7_EENS0_7pointerIS8_NS1_3tagENS0_11use_defaultESC_EEEEmLj1EEEvT0_T1_SG_ ; -- Begin function _ZN6thrust23THRUST_200600_302600_NS11hip_rocprim14__parallel_for6kernelILj256ENS1_20__uninitialized_copy7functorIPNS0_5tupleIbffNS0_9null_typeES7_S7_S7_S7_S7_S7_EENS0_7pointerIS8_NS1_3tagENS0_11use_defaultESC_EEEEmLj1EEEvT0_T1_SG_
	.globl	_ZN6thrust23THRUST_200600_302600_NS11hip_rocprim14__parallel_for6kernelILj256ENS1_20__uninitialized_copy7functorIPNS0_5tupleIbffNS0_9null_typeES7_S7_S7_S7_S7_S7_EENS0_7pointerIS8_NS1_3tagENS0_11use_defaultESC_EEEEmLj1EEEvT0_T1_SG_
	.p2align	8
	.type	_ZN6thrust23THRUST_200600_302600_NS11hip_rocprim14__parallel_for6kernelILj256ENS1_20__uninitialized_copy7functorIPNS0_5tupleIbffNS0_9null_typeES7_S7_S7_S7_S7_S7_EENS0_7pointerIS8_NS1_3tagENS0_11use_defaultESC_EEEEmLj1EEEvT0_T1_SG_,@function
_ZN6thrust23THRUST_200600_302600_NS11hip_rocprim14__parallel_for6kernelILj256ENS1_20__uninitialized_copy7functorIPNS0_5tupleIbffNS0_9null_typeES7_S7_S7_S7_S7_S7_EENS0_7pointerIS8_NS1_3tagENS0_11use_defaultESC_EEEEmLj1EEEvT0_T1_SG_: ; @_ZN6thrust23THRUST_200600_302600_NS11hip_rocprim14__parallel_for6kernelILj256ENS1_20__uninitialized_copy7functorIPNS0_5tupleIbffNS0_9null_typeES7_S7_S7_S7_S7_S7_EENS0_7pointerIS8_NS1_3tagENS0_11use_defaultESC_EEEEmLj1EEEvT0_T1_SG_
; %bb.0:
	s_load_b256 s[0:7], s[0:1], 0x0
	s_lshl_b32 s8, s15, 8
	s_waitcnt lgkmcnt(0)
	s_add_u32 s6, s8, s6
	s_addc_u32 s7, 0, s7
	s_sub_u32 s4, s4, s6
	s_subb_u32 s5, s5, s7
	s_delay_alu instid0(SALU_CYCLE_1) | instskip(NEXT) | instid1(VALU_DEP_1)
	v_cmp_gt_u64_e64 s5, 0x100, s[4:5]
	s_and_b32 vcc_lo, exec_lo, s5
	s_mov_b32 s5, -1
	s_cbranch_vccnz .LBB39_3
; %bb.1:
	s_and_not1_b32 vcc_lo, exec_lo, s5
	s_cbranch_vccz .LBB39_6
.LBB39_2:
	s_endpgm
.LBB39_3:
	v_cmp_gt_u32_e32 vcc_lo, s4, v0
	s_and_saveexec_b32 s4, vcc_lo
	s_cbranch_execz .LBB39_5
; %bb.4:
	v_add_co_u32 v6, s5, s6, v0
	s_delay_alu instid0(VALU_DEP_1) | instskip(NEXT) | instid1(VALU_DEP_2)
	v_add_co_ci_u32_e64 v1, null, s7, 0, s5
	v_mad_u64_u32 v[4:5], null, v6, 12, s[2:3]
	s_delay_alu instid0(VALU_DEP_2) | instskip(SKIP_1) | instid1(VALU_DEP_2)
	v_mul_lo_u32 v7, v1, 12
	v_mad_u64_u32 v[1:2], null, v6, 12, s[0:1]
	v_add_nc_u32_e32 v5, v7, v5
	s_delay_alu instid0(VALU_DEP_2)
	v_add_nc_u32_e32 v2, v7, v2
	global_load_b96 v[1:3], v[1:2], off
	s_waitcnt vmcnt(0)
	flat_store_b96 v[4:5], v[1:3]
.LBB39_5:
	s_or_b32 exec_lo, exec_lo, s4
	s_cbranch_execnz .LBB39_2
.LBB39_6:
	v_add_co_u32 v5, s4, s6, v0
	s_delay_alu instid0(VALU_DEP_1) | instskip(NEXT) | instid1(VALU_DEP_2)
	v_add_co_ci_u32_e64 v2, null, s7, 0, s4
	v_mad_u64_u32 v[0:1], null, v5, 12, s[0:1]
	s_delay_alu instid0(VALU_DEP_2) | instskip(SKIP_1) | instid1(VALU_DEP_2)
	v_mul_lo_u32 v6, v2, 12
	v_mad_u64_u32 v[3:4], null, v5, 12, s[2:3]
	v_add_nc_u32_e32 v1, v6, v1
	s_delay_alu instid0(VALU_DEP_2)
	v_add_nc_u32_e32 v4, v6, v4
	global_load_b96 v[0:2], v[0:1], off
	s_waitcnt vmcnt(0)
	flat_store_b96 v[3:4], v[0:2]
	s_endpgm
	.section	.rodata,"a",@progbits
	.p2align	6, 0x0
	.amdhsa_kernel _ZN6thrust23THRUST_200600_302600_NS11hip_rocprim14__parallel_for6kernelILj256ENS1_20__uninitialized_copy7functorIPNS0_5tupleIbffNS0_9null_typeES7_S7_S7_S7_S7_S7_EENS0_7pointerIS8_NS1_3tagENS0_11use_defaultESC_EEEEmLj1EEEvT0_T1_SG_
		.amdhsa_group_segment_fixed_size 0
		.amdhsa_private_segment_fixed_size 0
		.amdhsa_kernarg_size 32
		.amdhsa_user_sgpr_count 15
		.amdhsa_user_sgpr_dispatch_ptr 0
		.amdhsa_user_sgpr_queue_ptr 0
		.amdhsa_user_sgpr_kernarg_segment_ptr 1
		.amdhsa_user_sgpr_dispatch_id 0
		.amdhsa_user_sgpr_private_segment_size 0
		.amdhsa_wavefront_size32 1
		.amdhsa_uses_dynamic_stack 0
		.amdhsa_enable_private_segment 0
		.amdhsa_system_sgpr_workgroup_id_x 1
		.amdhsa_system_sgpr_workgroup_id_y 0
		.amdhsa_system_sgpr_workgroup_id_z 0
		.amdhsa_system_sgpr_workgroup_info 0
		.amdhsa_system_vgpr_workitem_id 0
		.amdhsa_next_free_vgpr 8
		.amdhsa_next_free_sgpr 16
		.amdhsa_reserve_vcc 1
		.amdhsa_float_round_mode_32 0
		.amdhsa_float_round_mode_16_64 0
		.amdhsa_float_denorm_mode_32 3
		.amdhsa_float_denorm_mode_16_64 3
		.amdhsa_dx10_clamp 1
		.amdhsa_ieee_mode 1
		.amdhsa_fp16_overflow 0
		.amdhsa_workgroup_processor_mode 1
		.amdhsa_memory_ordered 1
		.amdhsa_forward_progress 0
		.amdhsa_shared_vgpr_count 0
		.amdhsa_exception_fp_ieee_invalid_op 0
		.amdhsa_exception_fp_denorm_src 0
		.amdhsa_exception_fp_ieee_div_zero 0
		.amdhsa_exception_fp_ieee_overflow 0
		.amdhsa_exception_fp_ieee_underflow 0
		.amdhsa_exception_fp_ieee_inexact 0
		.amdhsa_exception_int_div_zero 0
	.end_amdhsa_kernel
	.section	.text._ZN6thrust23THRUST_200600_302600_NS11hip_rocprim14__parallel_for6kernelILj256ENS1_20__uninitialized_copy7functorIPNS0_5tupleIbffNS0_9null_typeES7_S7_S7_S7_S7_S7_EENS0_7pointerIS8_NS1_3tagENS0_11use_defaultESC_EEEEmLj1EEEvT0_T1_SG_,"axG",@progbits,_ZN6thrust23THRUST_200600_302600_NS11hip_rocprim14__parallel_for6kernelILj256ENS1_20__uninitialized_copy7functorIPNS0_5tupleIbffNS0_9null_typeES7_S7_S7_S7_S7_S7_EENS0_7pointerIS8_NS1_3tagENS0_11use_defaultESC_EEEEmLj1EEEvT0_T1_SG_,comdat
.Lfunc_end39:
	.size	_ZN6thrust23THRUST_200600_302600_NS11hip_rocprim14__parallel_for6kernelILj256ENS1_20__uninitialized_copy7functorIPNS0_5tupleIbffNS0_9null_typeES7_S7_S7_S7_S7_S7_EENS0_7pointerIS8_NS1_3tagENS0_11use_defaultESC_EEEEmLj1EEEvT0_T1_SG_, .Lfunc_end39-_ZN6thrust23THRUST_200600_302600_NS11hip_rocprim14__parallel_for6kernelILj256ENS1_20__uninitialized_copy7functorIPNS0_5tupleIbffNS0_9null_typeES7_S7_S7_S7_S7_S7_EENS0_7pointerIS8_NS1_3tagENS0_11use_defaultESC_EEEEmLj1EEEvT0_T1_SG_
                                        ; -- End function
	.section	.AMDGPU.csdata,"",@progbits
; Kernel info:
; codeLenInByte = 256
; NumSgprs: 18
; NumVgprs: 8
; ScratchSize: 0
; MemoryBound: 0
; FloatMode: 240
; IeeeMode: 1
; LDSByteSize: 0 bytes/workgroup (compile time only)
; SGPRBlocks: 2
; VGPRBlocks: 0
; NumSGPRsForWavesPerEU: 18
; NumVGPRsForWavesPerEU: 8
; Occupancy: 16
; WaveLimiterHint : 0
; COMPUTE_PGM_RSRC2:SCRATCH_EN: 0
; COMPUTE_PGM_RSRC2:USER_SGPR: 15
; COMPUTE_PGM_RSRC2:TRAP_HANDLER: 0
; COMPUTE_PGM_RSRC2:TGID_X_EN: 1
; COMPUTE_PGM_RSRC2:TGID_Y_EN: 0
; COMPUTE_PGM_RSRC2:TGID_Z_EN: 0
; COMPUTE_PGM_RSRC2:TIDIG_COMP_CNT: 0
	.text
	.p2alignl 7, 3214868480
	.fill 96, 4, 3214868480
	.type	__hip_cuid_f2d4fabf15e027c7,@object ; @__hip_cuid_f2d4fabf15e027c7
	.section	.bss,"aw",@nobits
	.globl	__hip_cuid_f2d4fabf15e027c7
__hip_cuid_f2d4fabf15e027c7:
	.byte	0                               ; 0x0
	.size	__hip_cuid_f2d4fabf15e027c7, 1

	.ident	"AMD clang version 19.0.0git (https://github.com/RadeonOpenCompute/llvm-project roc-6.4.0 25133 c7fe45cf4b819c5991fe208aaa96edf142730f1d)"
	.section	".note.GNU-stack","",@progbits
	.addrsig
	.addrsig_sym __hip_cuid_f2d4fabf15e027c7
	.amdgpu_metadata
---
amdhsa.kernels:
  - .args:
      - .offset:         0
        .size:           16
        .value_kind:     by_value
      - .offset:         16
        .size:           8
        .value_kind:     by_value
      - .offset:         24
        .size:           8
        .value_kind:     by_value
    .group_segment_fixed_size: 0
    .kernarg_segment_align: 8
    .kernarg_segment_size: 32
    .language:       OpenCL C
    .language_version:
      - 2
      - 0
    .max_flat_workgroup_size: 256
    .name:           _ZN6thrust23THRUST_200600_302600_NS11hip_rocprim14__parallel_for6kernelILj256ENS1_20__uninitialized_fill7functorINS0_10device_ptrIfEEfEEmLj1EEEvT0_T1_SA_
    .private_segment_fixed_size: 0
    .sgpr_count:     18
    .sgpr_spill_count: 0
    .symbol:         _ZN6thrust23THRUST_200600_302600_NS11hip_rocprim14__parallel_for6kernelILj256ENS1_20__uninitialized_fill7functorINS0_10device_ptrIfEEfEEmLj1EEEvT0_T1_SA_.kd
    .uniform_work_group_size: 1
    .uses_dynamic_stack: false
    .vgpr_count:     3
    .vgpr_spill_count: 0
    .wavefront_size: 32
    .workgroup_processor_mode: 1
  - .args:
      - .offset:         0
        .size:           64
        .value_kind:     by_value
    .group_segment_fixed_size: 0
    .kernarg_segment_align: 8
    .kernarg_segment_size: 64
    .language:       OpenCL C
    .language_version:
      - 2
      - 0
    .max_flat_workgroup_size: 128
    .name:           _ZN7rocprim17ROCPRIM_400000_NS6detail17trampoline_kernelINS0_14default_configENS1_22reduce_config_selectorIN6thrust23THRUST_200600_302600_NS5tupleIbffNS6_9null_typeES8_S8_S8_S8_S8_S8_EEEEZNS1_11reduce_implILb1ES3_PS9_SC_S9_12reduce_tupleIifEEE10hipError_tPvRmT1_T2_T3_mT4_P12ihipStream_tbEUlT_E0_NS1_11comp_targetILNS1_3genE0ELNS1_11target_archE4294967295ELNS1_3gpuE0ELNS1_3repE0EEENS1_30default_config_static_selectorELNS0_4arch9wavefront6targetE0EEEvSI_
    .private_segment_fixed_size: 0
    .sgpr_count:     0
    .sgpr_spill_count: 0
    .symbol:         _ZN7rocprim17ROCPRIM_400000_NS6detail17trampoline_kernelINS0_14default_configENS1_22reduce_config_selectorIN6thrust23THRUST_200600_302600_NS5tupleIbffNS6_9null_typeES8_S8_S8_S8_S8_S8_EEEEZNS1_11reduce_implILb1ES3_PS9_SC_S9_12reduce_tupleIifEEE10hipError_tPvRmT1_T2_T3_mT4_P12ihipStream_tbEUlT_E0_NS1_11comp_targetILNS1_3genE0ELNS1_11target_archE4294967295ELNS1_3gpuE0ELNS1_3repE0EEENS1_30default_config_static_selectorELNS0_4arch9wavefront6targetE0EEEvSI_.kd
    .uniform_work_group_size: 1
    .uses_dynamic_stack: false
    .vgpr_count:     0
    .vgpr_spill_count: 0
    .wavefront_size: 32
    .workgroup_processor_mode: 1
  - .args:
      - .offset:         0
        .size:           64
        .value_kind:     by_value
    .group_segment_fixed_size: 0
    .kernarg_segment_align: 8
    .kernarg_segment_size: 64
    .language:       OpenCL C
    .language_version:
      - 2
      - 0
    .max_flat_workgroup_size: 256
    .name:           _ZN7rocprim17ROCPRIM_400000_NS6detail17trampoline_kernelINS0_14default_configENS1_22reduce_config_selectorIN6thrust23THRUST_200600_302600_NS5tupleIbffNS6_9null_typeES8_S8_S8_S8_S8_S8_EEEEZNS1_11reduce_implILb1ES3_PS9_SC_S9_12reduce_tupleIifEEE10hipError_tPvRmT1_T2_T3_mT4_P12ihipStream_tbEUlT_E0_NS1_11comp_targetILNS1_3genE5ELNS1_11target_archE942ELNS1_3gpuE9ELNS1_3repE0EEENS1_30default_config_static_selectorELNS0_4arch9wavefront6targetE0EEEvSI_
    .private_segment_fixed_size: 0
    .sgpr_count:     0
    .sgpr_spill_count: 0
    .symbol:         _ZN7rocprim17ROCPRIM_400000_NS6detail17trampoline_kernelINS0_14default_configENS1_22reduce_config_selectorIN6thrust23THRUST_200600_302600_NS5tupleIbffNS6_9null_typeES8_S8_S8_S8_S8_S8_EEEEZNS1_11reduce_implILb1ES3_PS9_SC_S9_12reduce_tupleIifEEE10hipError_tPvRmT1_T2_T3_mT4_P12ihipStream_tbEUlT_E0_NS1_11comp_targetILNS1_3genE5ELNS1_11target_archE942ELNS1_3gpuE9ELNS1_3repE0EEENS1_30default_config_static_selectorELNS0_4arch9wavefront6targetE0EEEvSI_.kd
    .uniform_work_group_size: 1
    .uses_dynamic_stack: false
    .vgpr_count:     0
    .vgpr_spill_count: 0
    .wavefront_size: 32
    .workgroup_processor_mode: 1
  - .args:
      - .offset:         0
        .size:           64
        .value_kind:     by_value
    .group_segment_fixed_size: 0
    .kernarg_segment_align: 8
    .kernarg_segment_size: 64
    .language:       OpenCL C
    .language_version:
      - 2
      - 0
    .max_flat_workgroup_size: 256
    .name:           _ZN7rocprim17ROCPRIM_400000_NS6detail17trampoline_kernelINS0_14default_configENS1_22reduce_config_selectorIN6thrust23THRUST_200600_302600_NS5tupleIbffNS6_9null_typeES8_S8_S8_S8_S8_S8_EEEEZNS1_11reduce_implILb1ES3_PS9_SC_S9_12reduce_tupleIifEEE10hipError_tPvRmT1_T2_T3_mT4_P12ihipStream_tbEUlT_E0_NS1_11comp_targetILNS1_3genE4ELNS1_11target_archE910ELNS1_3gpuE8ELNS1_3repE0EEENS1_30default_config_static_selectorELNS0_4arch9wavefront6targetE0EEEvSI_
    .private_segment_fixed_size: 0
    .sgpr_count:     0
    .sgpr_spill_count: 0
    .symbol:         _ZN7rocprim17ROCPRIM_400000_NS6detail17trampoline_kernelINS0_14default_configENS1_22reduce_config_selectorIN6thrust23THRUST_200600_302600_NS5tupleIbffNS6_9null_typeES8_S8_S8_S8_S8_S8_EEEEZNS1_11reduce_implILb1ES3_PS9_SC_S9_12reduce_tupleIifEEE10hipError_tPvRmT1_T2_T3_mT4_P12ihipStream_tbEUlT_E0_NS1_11comp_targetILNS1_3genE4ELNS1_11target_archE910ELNS1_3gpuE8ELNS1_3repE0EEENS1_30default_config_static_selectorELNS0_4arch9wavefront6targetE0EEEvSI_.kd
    .uniform_work_group_size: 1
    .uses_dynamic_stack: false
    .vgpr_count:     0
    .vgpr_spill_count: 0
    .wavefront_size: 32
    .workgroup_processor_mode: 1
  - .args:
      - .offset:         0
        .size:           64
        .value_kind:     by_value
    .group_segment_fixed_size: 0
    .kernarg_segment_align: 8
    .kernarg_segment_size: 64
    .language:       OpenCL C
    .language_version:
      - 2
      - 0
    .max_flat_workgroup_size: 128
    .name:           _ZN7rocprim17ROCPRIM_400000_NS6detail17trampoline_kernelINS0_14default_configENS1_22reduce_config_selectorIN6thrust23THRUST_200600_302600_NS5tupleIbffNS6_9null_typeES8_S8_S8_S8_S8_S8_EEEEZNS1_11reduce_implILb1ES3_PS9_SC_S9_12reduce_tupleIifEEE10hipError_tPvRmT1_T2_T3_mT4_P12ihipStream_tbEUlT_E0_NS1_11comp_targetILNS1_3genE3ELNS1_11target_archE908ELNS1_3gpuE7ELNS1_3repE0EEENS1_30default_config_static_selectorELNS0_4arch9wavefront6targetE0EEEvSI_
    .private_segment_fixed_size: 0
    .sgpr_count:     0
    .sgpr_spill_count: 0
    .symbol:         _ZN7rocprim17ROCPRIM_400000_NS6detail17trampoline_kernelINS0_14default_configENS1_22reduce_config_selectorIN6thrust23THRUST_200600_302600_NS5tupleIbffNS6_9null_typeES8_S8_S8_S8_S8_S8_EEEEZNS1_11reduce_implILb1ES3_PS9_SC_S9_12reduce_tupleIifEEE10hipError_tPvRmT1_T2_T3_mT4_P12ihipStream_tbEUlT_E0_NS1_11comp_targetILNS1_3genE3ELNS1_11target_archE908ELNS1_3gpuE7ELNS1_3repE0EEENS1_30default_config_static_selectorELNS0_4arch9wavefront6targetE0EEEvSI_.kd
    .uniform_work_group_size: 1
    .uses_dynamic_stack: false
    .vgpr_count:     0
    .vgpr_spill_count: 0
    .wavefront_size: 32
    .workgroup_processor_mode: 1
  - .args:
      - .offset:         0
        .size:           64
        .value_kind:     by_value
    .group_segment_fixed_size: 0
    .kernarg_segment_align: 8
    .kernarg_segment_size: 64
    .language:       OpenCL C
    .language_version:
      - 2
      - 0
    .max_flat_workgroup_size: 128
    .name:           _ZN7rocprim17ROCPRIM_400000_NS6detail17trampoline_kernelINS0_14default_configENS1_22reduce_config_selectorIN6thrust23THRUST_200600_302600_NS5tupleIbffNS6_9null_typeES8_S8_S8_S8_S8_S8_EEEEZNS1_11reduce_implILb1ES3_PS9_SC_S9_12reduce_tupleIifEEE10hipError_tPvRmT1_T2_T3_mT4_P12ihipStream_tbEUlT_E0_NS1_11comp_targetILNS1_3genE2ELNS1_11target_archE906ELNS1_3gpuE6ELNS1_3repE0EEENS1_30default_config_static_selectorELNS0_4arch9wavefront6targetE0EEEvSI_
    .private_segment_fixed_size: 0
    .sgpr_count:     0
    .sgpr_spill_count: 0
    .symbol:         _ZN7rocprim17ROCPRIM_400000_NS6detail17trampoline_kernelINS0_14default_configENS1_22reduce_config_selectorIN6thrust23THRUST_200600_302600_NS5tupleIbffNS6_9null_typeES8_S8_S8_S8_S8_S8_EEEEZNS1_11reduce_implILb1ES3_PS9_SC_S9_12reduce_tupleIifEEE10hipError_tPvRmT1_T2_T3_mT4_P12ihipStream_tbEUlT_E0_NS1_11comp_targetILNS1_3genE2ELNS1_11target_archE906ELNS1_3gpuE6ELNS1_3repE0EEENS1_30default_config_static_selectorELNS0_4arch9wavefront6targetE0EEEvSI_.kd
    .uniform_work_group_size: 1
    .uses_dynamic_stack: false
    .vgpr_count:     0
    .vgpr_spill_count: 0
    .wavefront_size: 32
    .workgroup_processor_mode: 1
  - .args:
      - .offset:         0
        .size:           64
        .value_kind:     by_value
    .group_segment_fixed_size: 0
    .kernarg_segment_align: 8
    .kernarg_segment_size: 64
    .language:       OpenCL C
    .language_version:
      - 2
      - 0
    .max_flat_workgroup_size: 256
    .name:           _ZN7rocprim17ROCPRIM_400000_NS6detail17trampoline_kernelINS0_14default_configENS1_22reduce_config_selectorIN6thrust23THRUST_200600_302600_NS5tupleIbffNS6_9null_typeES8_S8_S8_S8_S8_S8_EEEEZNS1_11reduce_implILb1ES3_PS9_SC_S9_12reduce_tupleIifEEE10hipError_tPvRmT1_T2_T3_mT4_P12ihipStream_tbEUlT_E0_NS1_11comp_targetILNS1_3genE10ELNS1_11target_archE1201ELNS1_3gpuE5ELNS1_3repE0EEENS1_30default_config_static_selectorELNS0_4arch9wavefront6targetE0EEEvSI_
    .private_segment_fixed_size: 0
    .sgpr_count:     0
    .sgpr_spill_count: 0
    .symbol:         _ZN7rocprim17ROCPRIM_400000_NS6detail17trampoline_kernelINS0_14default_configENS1_22reduce_config_selectorIN6thrust23THRUST_200600_302600_NS5tupleIbffNS6_9null_typeES8_S8_S8_S8_S8_S8_EEEEZNS1_11reduce_implILb1ES3_PS9_SC_S9_12reduce_tupleIifEEE10hipError_tPvRmT1_T2_T3_mT4_P12ihipStream_tbEUlT_E0_NS1_11comp_targetILNS1_3genE10ELNS1_11target_archE1201ELNS1_3gpuE5ELNS1_3repE0EEENS1_30default_config_static_selectorELNS0_4arch9wavefront6targetE0EEEvSI_.kd
    .uniform_work_group_size: 1
    .uses_dynamic_stack: false
    .vgpr_count:     0
    .vgpr_spill_count: 0
    .wavefront_size: 32
    .workgroup_processor_mode: 1
  - .args:
      - .offset:         0
        .size:           64
        .value_kind:     by_value
    .group_segment_fixed_size: 0
    .kernarg_segment_align: 8
    .kernarg_segment_size: 64
    .language:       OpenCL C
    .language_version:
      - 2
      - 0
    .max_flat_workgroup_size: 256
    .name:           _ZN7rocprim17ROCPRIM_400000_NS6detail17trampoline_kernelINS0_14default_configENS1_22reduce_config_selectorIN6thrust23THRUST_200600_302600_NS5tupleIbffNS6_9null_typeES8_S8_S8_S8_S8_S8_EEEEZNS1_11reduce_implILb1ES3_PS9_SC_S9_12reduce_tupleIifEEE10hipError_tPvRmT1_T2_T3_mT4_P12ihipStream_tbEUlT_E0_NS1_11comp_targetILNS1_3genE10ELNS1_11target_archE1200ELNS1_3gpuE4ELNS1_3repE0EEENS1_30default_config_static_selectorELNS0_4arch9wavefront6targetE0EEEvSI_
    .private_segment_fixed_size: 0
    .sgpr_count:     0
    .sgpr_spill_count: 0
    .symbol:         _ZN7rocprim17ROCPRIM_400000_NS6detail17trampoline_kernelINS0_14default_configENS1_22reduce_config_selectorIN6thrust23THRUST_200600_302600_NS5tupleIbffNS6_9null_typeES8_S8_S8_S8_S8_S8_EEEEZNS1_11reduce_implILb1ES3_PS9_SC_S9_12reduce_tupleIifEEE10hipError_tPvRmT1_T2_T3_mT4_P12ihipStream_tbEUlT_E0_NS1_11comp_targetILNS1_3genE10ELNS1_11target_archE1200ELNS1_3gpuE4ELNS1_3repE0EEENS1_30default_config_static_selectorELNS0_4arch9wavefront6targetE0EEEvSI_.kd
    .uniform_work_group_size: 1
    .uses_dynamic_stack: false
    .vgpr_count:     0
    .vgpr_spill_count: 0
    .wavefront_size: 32
    .workgroup_processor_mode: 1
  - .args:
      - .offset:         0
        .size:           64
        .value_kind:     by_value
    .group_segment_fixed_size: 192
    .kernarg_segment_align: 8
    .kernarg_segment_size: 64
    .language:       OpenCL C
    .language_version:
      - 2
      - 0
    .max_flat_workgroup_size: 256
    .name:           _ZN7rocprim17ROCPRIM_400000_NS6detail17trampoline_kernelINS0_14default_configENS1_22reduce_config_selectorIN6thrust23THRUST_200600_302600_NS5tupleIbffNS6_9null_typeES8_S8_S8_S8_S8_S8_EEEEZNS1_11reduce_implILb1ES3_PS9_SC_S9_12reduce_tupleIifEEE10hipError_tPvRmT1_T2_T3_mT4_P12ihipStream_tbEUlT_E0_NS1_11comp_targetILNS1_3genE9ELNS1_11target_archE1100ELNS1_3gpuE3ELNS1_3repE0EEENS1_30default_config_static_selectorELNS0_4arch9wavefront6targetE0EEEvSI_
    .private_segment_fixed_size: 0
    .sgpr_count:     21
    .sgpr_spill_count: 0
    .symbol:         _ZN7rocprim17ROCPRIM_400000_NS6detail17trampoline_kernelINS0_14default_configENS1_22reduce_config_selectorIN6thrust23THRUST_200600_302600_NS5tupleIbffNS6_9null_typeES8_S8_S8_S8_S8_S8_EEEEZNS1_11reduce_implILb1ES3_PS9_SC_S9_12reduce_tupleIifEEE10hipError_tPvRmT1_T2_T3_mT4_P12ihipStream_tbEUlT_E0_NS1_11comp_targetILNS1_3genE9ELNS1_11target_archE1100ELNS1_3gpuE3ELNS1_3repE0EEENS1_30default_config_static_selectorELNS0_4arch9wavefront6targetE0EEEvSI_.kd
    .uniform_work_group_size: 1
    .uses_dynamic_stack: false
    .vgpr_count:     15
    .vgpr_spill_count: 0
    .wavefront_size: 32
    .workgroup_processor_mode: 1
  - .args:
      - .offset:         0
        .size:           64
        .value_kind:     by_value
    .group_segment_fixed_size: 0
    .kernarg_segment_align: 8
    .kernarg_segment_size: 64
    .language:       OpenCL C
    .language_version:
      - 2
      - 0
    .max_flat_workgroup_size: 256
    .name:           _ZN7rocprim17ROCPRIM_400000_NS6detail17trampoline_kernelINS0_14default_configENS1_22reduce_config_selectorIN6thrust23THRUST_200600_302600_NS5tupleIbffNS6_9null_typeES8_S8_S8_S8_S8_S8_EEEEZNS1_11reduce_implILb1ES3_PS9_SC_S9_12reduce_tupleIifEEE10hipError_tPvRmT1_T2_T3_mT4_P12ihipStream_tbEUlT_E0_NS1_11comp_targetILNS1_3genE8ELNS1_11target_archE1030ELNS1_3gpuE2ELNS1_3repE0EEENS1_30default_config_static_selectorELNS0_4arch9wavefront6targetE0EEEvSI_
    .private_segment_fixed_size: 0
    .sgpr_count:     0
    .sgpr_spill_count: 0
    .symbol:         _ZN7rocprim17ROCPRIM_400000_NS6detail17trampoline_kernelINS0_14default_configENS1_22reduce_config_selectorIN6thrust23THRUST_200600_302600_NS5tupleIbffNS6_9null_typeES8_S8_S8_S8_S8_S8_EEEEZNS1_11reduce_implILb1ES3_PS9_SC_S9_12reduce_tupleIifEEE10hipError_tPvRmT1_T2_T3_mT4_P12ihipStream_tbEUlT_E0_NS1_11comp_targetILNS1_3genE8ELNS1_11target_archE1030ELNS1_3gpuE2ELNS1_3repE0EEENS1_30default_config_static_selectorELNS0_4arch9wavefront6targetE0EEEvSI_.kd
    .uniform_work_group_size: 1
    .uses_dynamic_stack: false
    .vgpr_count:     0
    .vgpr_spill_count: 0
    .wavefront_size: 32
    .workgroup_processor_mode: 1
  - .args:
      - .offset:         0
        .size:           48
        .value_kind:     by_value
    .group_segment_fixed_size: 0
    .kernarg_segment_align: 8
    .kernarg_segment_size: 48
    .language:       OpenCL C
    .language_version:
      - 2
      - 0
    .max_flat_workgroup_size: 128
    .name:           _ZN7rocprim17ROCPRIM_400000_NS6detail17trampoline_kernelINS0_14default_configENS1_22reduce_config_selectorIN6thrust23THRUST_200600_302600_NS5tupleIbffNS6_9null_typeES8_S8_S8_S8_S8_S8_EEEEZNS1_11reduce_implILb1ES3_PS9_SC_S9_12reduce_tupleIifEEE10hipError_tPvRmT1_T2_T3_mT4_P12ihipStream_tbEUlT_E1_NS1_11comp_targetILNS1_3genE0ELNS1_11target_archE4294967295ELNS1_3gpuE0ELNS1_3repE0EEENS1_30default_config_static_selectorELNS0_4arch9wavefront6targetE0EEEvSI_
    .private_segment_fixed_size: 0
    .sgpr_count:     0
    .sgpr_spill_count: 0
    .symbol:         _ZN7rocprim17ROCPRIM_400000_NS6detail17trampoline_kernelINS0_14default_configENS1_22reduce_config_selectorIN6thrust23THRUST_200600_302600_NS5tupleIbffNS6_9null_typeES8_S8_S8_S8_S8_S8_EEEEZNS1_11reduce_implILb1ES3_PS9_SC_S9_12reduce_tupleIifEEE10hipError_tPvRmT1_T2_T3_mT4_P12ihipStream_tbEUlT_E1_NS1_11comp_targetILNS1_3genE0ELNS1_11target_archE4294967295ELNS1_3gpuE0ELNS1_3repE0EEENS1_30default_config_static_selectorELNS0_4arch9wavefront6targetE0EEEvSI_.kd
    .uniform_work_group_size: 1
    .uses_dynamic_stack: false
    .vgpr_count:     0
    .vgpr_spill_count: 0
    .wavefront_size: 32
    .workgroup_processor_mode: 1
  - .args:
      - .offset:         0
        .size:           48
        .value_kind:     by_value
    .group_segment_fixed_size: 0
    .kernarg_segment_align: 8
    .kernarg_segment_size: 48
    .language:       OpenCL C
    .language_version:
      - 2
      - 0
    .max_flat_workgroup_size: 256
    .name:           _ZN7rocprim17ROCPRIM_400000_NS6detail17trampoline_kernelINS0_14default_configENS1_22reduce_config_selectorIN6thrust23THRUST_200600_302600_NS5tupleIbffNS6_9null_typeES8_S8_S8_S8_S8_S8_EEEEZNS1_11reduce_implILb1ES3_PS9_SC_S9_12reduce_tupleIifEEE10hipError_tPvRmT1_T2_T3_mT4_P12ihipStream_tbEUlT_E1_NS1_11comp_targetILNS1_3genE5ELNS1_11target_archE942ELNS1_3gpuE9ELNS1_3repE0EEENS1_30default_config_static_selectorELNS0_4arch9wavefront6targetE0EEEvSI_
    .private_segment_fixed_size: 0
    .sgpr_count:     0
    .sgpr_spill_count: 0
    .symbol:         _ZN7rocprim17ROCPRIM_400000_NS6detail17trampoline_kernelINS0_14default_configENS1_22reduce_config_selectorIN6thrust23THRUST_200600_302600_NS5tupleIbffNS6_9null_typeES8_S8_S8_S8_S8_S8_EEEEZNS1_11reduce_implILb1ES3_PS9_SC_S9_12reduce_tupleIifEEE10hipError_tPvRmT1_T2_T3_mT4_P12ihipStream_tbEUlT_E1_NS1_11comp_targetILNS1_3genE5ELNS1_11target_archE942ELNS1_3gpuE9ELNS1_3repE0EEENS1_30default_config_static_selectorELNS0_4arch9wavefront6targetE0EEEvSI_.kd
    .uniform_work_group_size: 1
    .uses_dynamic_stack: false
    .vgpr_count:     0
    .vgpr_spill_count: 0
    .wavefront_size: 32
    .workgroup_processor_mode: 1
  - .args:
      - .offset:         0
        .size:           48
        .value_kind:     by_value
    .group_segment_fixed_size: 0
    .kernarg_segment_align: 8
    .kernarg_segment_size: 48
    .language:       OpenCL C
    .language_version:
      - 2
      - 0
    .max_flat_workgroup_size: 256
    .name:           _ZN7rocprim17ROCPRIM_400000_NS6detail17trampoline_kernelINS0_14default_configENS1_22reduce_config_selectorIN6thrust23THRUST_200600_302600_NS5tupleIbffNS6_9null_typeES8_S8_S8_S8_S8_S8_EEEEZNS1_11reduce_implILb1ES3_PS9_SC_S9_12reduce_tupleIifEEE10hipError_tPvRmT1_T2_T3_mT4_P12ihipStream_tbEUlT_E1_NS1_11comp_targetILNS1_3genE4ELNS1_11target_archE910ELNS1_3gpuE8ELNS1_3repE0EEENS1_30default_config_static_selectorELNS0_4arch9wavefront6targetE0EEEvSI_
    .private_segment_fixed_size: 0
    .sgpr_count:     0
    .sgpr_spill_count: 0
    .symbol:         _ZN7rocprim17ROCPRIM_400000_NS6detail17trampoline_kernelINS0_14default_configENS1_22reduce_config_selectorIN6thrust23THRUST_200600_302600_NS5tupleIbffNS6_9null_typeES8_S8_S8_S8_S8_S8_EEEEZNS1_11reduce_implILb1ES3_PS9_SC_S9_12reduce_tupleIifEEE10hipError_tPvRmT1_T2_T3_mT4_P12ihipStream_tbEUlT_E1_NS1_11comp_targetILNS1_3genE4ELNS1_11target_archE910ELNS1_3gpuE8ELNS1_3repE0EEENS1_30default_config_static_selectorELNS0_4arch9wavefront6targetE0EEEvSI_.kd
    .uniform_work_group_size: 1
    .uses_dynamic_stack: false
    .vgpr_count:     0
    .vgpr_spill_count: 0
    .wavefront_size: 32
    .workgroup_processor_mode: 1
  - .args:
      - .offset:         0
        .size:           48
        .value_kind:     by_value
    .group_segment_fixed_size: 0
    .kernarg_segment_align: 8
    .kernarg_segment_size: 48
    .language:       OpenCL C
    .language_version:
      - 2
      - 0
    .max_flat_workgroup_size: 128
    .name:           _ZN7rocprim17ROCPRIM_400000_NS6detail17trampoline_kernelINS0_14default_configENS1_22reduce_config_selectorIN6thrust23THRUST_200600_302600_NS5tupleIbffNS6_9null_typeES8_S8_S8_S8_S8_S8_EEEEZNS1_11reduce_implILb1ES3_PS9_SC_S9_12reduce_tupleIifEEE10hipError_tPvRmT1_T2_T3_mT4_P12ihipStream_tbEUlT_E1_NS1_11comp_targetILNS1_3genE3ELNS1_11target_archE908ELNS1_3gpuE7ELNS1_3repE0EEENS1_30default_config_static_selectorELNS0_4arch9wavefront6targetE0EEEvSI_
    .private_segment_fixed_size: 0
    .sgpr_count:     0
    .sgpr_spill_count: 0
    .symbol:         _ZN7rocprim17ROCPRIM_400000_NS6detail17trampoline_kernelINS0_14default_configENS1_22reduce_config_selectorIN6thrust23THRUST_200600_302600_NS5tupleIbffNS6_9null_typeES8_S8_S8_S8_S8_S8_EEEEZNS1_11reduce_implILb1ES3_PS9_SC_S9_12reduce_tupleIifEEE10hipError_tPvRmT1_T2_T3_mT4_P12ihipStream_tbEUlT_E1_NS1_11comp_targetILNS1_3genE3ELNS1_11target_archE908ELNS1_3gpuE7ELNS1_3repE0EEENS1_30default_config_static_selectorELNS0_4arch9wavefront6targetE0EEEvSI_.kd
    .uniform_work_group_size: 1
    .uses_dynamic_stack: false
    .vgpr_count:     0
    .vgpr_spill_count: 0
    .wavefront_size: 32
    .workgroup_processor_mode: 1
  - .args:
      - .offset:         0
        .size:           48
        .value_kind:     by_value
    .group_segment_fixed_size: 0
    .kernarg_segment_align: 8
    .kernarg_segment_size: 48
    .language:       OpenCL C
    .language_version:
      - 2
      - 0
    .max_flat_workgroup_size: 128
    .name:           _ZN7rocprim17ROCPRIM_400000_NS6detail17trampoline_kernelINS0_14default_configENS1_22reduce_config_selectorIN6thrust23THRUST_200600_302600_NS5tupleIbffNS6_9null_typeES8_S8_S8_S8_S8_S8_EEEEZNS1_11reduce_implILb1ES3_PS9_SC_S9_12reduce_tupleIifEEE10hipError_tPvRmT1_T2_T3_mT4_P12ihipStream_tbEUlT_E1_NS1_11comp_targetILNS1_3genE2ELNS1_11target_archE906ELNS1_3gpuE6ELNS1_3repE0EEENS1_30default_config_static_selectorELNS0_4arch9wavefront6targetE0EEEvSI_
    .private_segment_fixed_size: 0
    .sgpr_count:     0
    .sgpr_spill_count: 0
    .symbol:         _ZN7rocprim17ROCPRIM_400000_NS6detail17trampoline_kernelINS0_14default_configENS1_22reduce_config_selectorIN6thrust23THRUST_200600_302600_NS5tupleIbffNS6_9null_typeES8_S8_S8_S8_S8_S8_EEEEZNS1_11reduce_implILb1ES3_PS9_SC_S9_12reduce_tupleIifEEE10hipError_tPvRmT1_T2_T3_mT4_P12ihipStream_tbEUlT_E1_NS1_11comp_targetILNS1_3genE2ELNS1_11target_archE906ELNS1_3gpuE6ELNS1_3repE0EEENS1_30default_config_static_selectorELNS0_4arch9wavefront6targetE0EEEvSI_.kd
    .uniform_work_group_size: 1
    .uses_dynamic_stack: false
    .vgpr_count:     0
    .vgpr_spill_count: 0
    .wavefront_size: 32
    .workgroup_processor_mode: 1
  - .args:
      - .offset:         0
        .size:           48
        .value_kind:     by_value
    .group_segment_fixed_size: 0
    .kernarg_segment_align: 8
    .kernarg_segment_size: 48
    .language:       OpenCL C
    .language_version:
      - 2
      - 0
    .max_flat_workgroup_size: 256
    .name:           _ZN7rocprim17ROCPRIM_400000_NS6detail17trampoline_kernelINS0_14default_configENS1_22reduce_config_selectorIN6thrust23THRUST_200600_302600_NS5tupleIbffNS6_9null_typeES8_S8_S8_S8_S8_S8_EEEEZNS1_11reduce_implILb1ES3_PS9_SC_S9_12reduce_tupleIifEEE10hipError_tPvRmT1_T2_T3_mT4_P12ihipStream_tbEUlT_E1_NS1_11comp_targetILNS1_3genE10ELNS1_11target_archE1201ELNS1_3gpuE5ELNS1_3repE0EEENS1_30default_config_static_selectorELNS0_4arch9wavefront6targetE0EEEvSI_
    .private_segment_fixed_size: 0
    .sgpr_count:     0
    .sgpr_spill_count: 0
    .symbol:         _ZN7rocprim17ROCPRIM_400000_NS6detail17trampoline_kernelINS0_14default_configENS1_22reduce_config_selectorIN6thrust23THRUST_200600_302600_NS5tupleIbffNS6_9null_typeES8_S8_S8_S8_S8_S8_EEEEZNS1_11reduce_implILb1ES3_PS9_SC_S9_12reduce_tupleIifEEE10hipError_tPvRmT1_T2_T3_mT4_P12ihipStream_tbEUlT_E1_NS1_11comp_targetILNS1_3genE10ELNS1_11target_archE1201ELNS1_3gpuE5ELNS1_3repE0EEENS1_30default_config_static_selectorELNS0_4arch9wavefront6targetE0EEEvSI_.kd
    .uniform_work_group_size: 1
    .uses_dynamic_stack: false
    .vgpr_count:     0
    .vgpr_spill_count: 0
    .wavefront_size: 32
    .workgroup_processor_mode: 1
  - .args:
      - .offset:         0
        .size:           48
        .value_kind:     by_value
    .group_segment_fixed_size: 0
    .kernarg_segment_align: 8
    .kernarg_segment_size: 48
    .language:       OpenCL C
    .language_version:
      - 2
      - 0
    .max_flat_workgroup_size: 256
    .name:           _ZN7rocprim17ROCPRIM_400000_NS6detail17trampoline_kernelINS0_14default_configENS1_22reduce_config_selectorIN6thrust23THRUST_200600_302600_NS5tupleIbffNS6_9null_typeES8_S8_S8_S8_S8_S8_EEEEZNS1_11reduce_implILb1ES3_PS9_SC_S9_12reduce_tupleIifEEE10hipError_tPvRmT1_T2_T3_mT4_P12ihipStream_tbEUlT_E1_NS1_11comp_targetILNS1_3genE10ELNS1_11target_archE1200ELNS1_3gpuE4ELNS1_3repE0EEENS1_30default_config_static_selectorELNS0_4arch9wavefront6targetE0EEEvSI_
    .private_segment_fixed_size: 0
    .sgpr_count:     0
    .sgpr_spill_count: 0
    .symbol:         _ZN7rocprim17ROCPRIM_400000_NS6detail17trampoline_kernelINS0_14default_configENS1_22reduce_config_selectorIN6thrust23THRUST_200600_302600_NS5tupleIbffNS6_9null_typeES8_S8_S8_S8_S8_S8_EEEEZNS1_11reduce_implILb1ES3_PS9_SC_S9_12reduce_tupleIifEEE10hipError_tPvRmT1_T2_T3_mT4_P12ihipStream_tbEUlT_E1_NS1_11comp_targetILNS1_3genE10ELNS1_11target_archE1200ELNS1_3gpuE4ELNS1_3repE0EEENS1_30default_config_static_selectorELNS0_4arch9wavefront6targetE0EEEvSI_.kd
    .uniform_work_group_size: 1
    .uses_dynamic_stack: false
    .vgpr_count:     0
    .vgpr_spill_count: 0
    .wavefront_size: 32
    .workgroup_processor_mode: 1
  - .args:
      - .offset:         0
        .size:           48
        .value_kind:     by_value
    .group_segment_fixed_size: 576
    .kernarg_segment_align: 8
    .kernarg_segment_size: 48
    .language:       OpenCL C
    .language_version:
      - 2
      - 0
    .max_flat_workgroup_size: 256
    .name:           _ZN7rocprim17ROCPRIM_400000_NS6detail17trampoline_kernelINS0_14default_configENS1_22reduce_config_selectorIN6thrust23THRUST_200600_302600_NS5tupleIbffNS6_9null_typeES8_S8_S8_S8_S8_S8_EEEEZNS1_11reduce_implILb1ES3_PS9_SC_S9_12reduce_tupleIifEEE10hipError_tPvRmT1_T2_T3_mT4_P12ihipStream_tbEUlT_E1_NS1_11comp_targetILNS1_3genE9ELNS1_11target_archE1100ELNS1_3gpuE3ELNS1_3repE0EEENS1_30default_config_static_selectorELNS0_4arch9wavefront6targetE0EEEvSI_
    .private_segment_fixed_size: 0
    .sgpr_count:     33
    .sgpr_spill_count: 0
    .symbol:         _ZN7rocprim17ROCPRIM_400000_NS6detail17trampoline_kernelINS0_14default_configENS1_22reduce_config_selectorIN6thrust23THRUST_200600_302600_NS5tupleIbffNS6_9null_typeES8_S8_S8_S8_S8_S8_EEEEZNS1_11reduce_implILb1ES3_PS9_SC_S9_12reduce_tupleIifEEE10hipError_tPvRmT1_T2_T3_mT4_P12ihipStream_tbEUlT_E1_NS1_11comp_targetILNS1_3genE9ELNS1_11target_archE1100ELNS1_3gpuE3ELNS1_3repE0EEENS1_30default_config_static_selectorELNS0_4arch9wavefront6targetE0EEEvSI_.kd
    .uniform_work_group_size: 1
    .uses_dynamic_stack: false
    .vgpr_count:     51
    .vgpr_spill_count: 0
    .wavefront_size: 32
    .workgroup_processor_mode: 1
  - .args:
      - .offset:         0
        .size:           48
        .value_kind:     by_value
    .group_segment_fixed_size: 0
    .kernarg_segment_align: 8
    .kernarg_segment_size: 48
    .language:       OpenCL C
    .language_version:
      - 2
      - 0
    .max_flat_workgroup_size: 256
    .name:           _ZN7rocprim17ROCPRIM_400000_NS6detail17trampoline_kernelINS0_14default_configENS1_22reduce_config_selectorIN6thrust23THRUST_200600_302600_NS5tupleIbffNS6_9null_typeES8_S8_S8_S8_S8_S8_EEEEZNS1_11reduce_implILb1ES3_PS9_SC_S9_12reduce_tupleIifEEE10hipError_tPvRmT1_T2_T3_mT4_P12ihipStream_tbEUlT_E1_NS1_11comp_targetILNS1_3genE8ELNS1_11target_archE1030ELNS1_3gpuE2ELNS1_3repE0EEENS1_30default_config_static_selectorELNS0_4arch9wavefront6targetE0EEEvSI_
    .private_segment_fixed_size: 0
    .sgpr_count:     0
    .sgpr_spill_count: 0
    .symbol:         _ZN7rocprim17ROCPRIM_400000_NS6detail17trampoline_kernelINS0_14default_configENS1_22reduce_config_selectorIN6thrust23THRUST_200600_302600_NS5tupleIbffNS6_9null_typeES8_S8_S8_S8_S8_S8_EEEEZNS1_11reduce_implILb1ES3_PS9_SC_S9_12reduce_tupleIifEEE10hipError_tPvRmT1_T2_T3_mT4_P12ihipStream_tbEUlT_E1_NS1_11comp_targetILNS1_3genE8ELNS1_11target_archE1030ELNS1_3gpuE2ELNS1_3repE0EEENS1_30default_config_static_selectorELNS0_4arch9wavefront6targetE0EEEvSI_.kd
    .uniform_work_group_size: 1
    .uses_dynamic_stack: false
    .vgpr_count:     0
    .vgpr_spill_count: 0
    .wavefront_size: 32
    .workgroup_processor_mode: 1
  - .args:
      - .offset:         0
        .size:           80
        .value_kind:     by_value
    .group_segment_fixed_size: 0
    .kernarg_segment_align: 8
    .kernarg_segment_size: 80
    .language:       OpenCL C
    .language_version:
      - 2
      - 0
    .max_flat_workgroup_size: 128
    .name:           _ZN7rocprim17ROCPRIM_400000_NS6detail17trampoline_kernelINS0_14default_configENS1_22reduce_config_selectorIN6thrust23THRUST_200600_302600_NS5tupleIbffNS6_9null_typeES8_S8_S8_S8_S8_S8_EEEEZNS1_11reduce_implILb1ES3_NS6_11hip_rocprim26transform_input_iterator_tIS9_NS6_12zip_iteratorINS7_INS6_17counting_iteratorIiNS6_11use_defaultESG_SG_EENS6_6detail15normal_iteratorINS6_10device_ptrIfEEEES8_S8_S8_S8_S8_S8_S8_S8_EEEE15transform_tupleIifEEEPS9_S9_12reduce_tupleIifEEE10hipError_tPvRmT1_T2_T3_mT4_P12ihipStream_tbEUlT_E0_NS1_11comp_targetILNS1_3genE0ELNS1_11target_archE4294967295ELNS1_3gpuE0ELNS1_3repE0EEENS1_30default_config_static_selectorELNS0_4arch9wavefront6targetE0EEEvSY_
    .private_segment_fixed_size: 0
    .sgpr_count:     0
    .sgpr_spill_count: 0
    .symbol:         _ZN7rocprim17ROCPRIM_400000_NS6detail17trampoline_kernelINS0_14default_configENS1_22reduce_config_selectorIN6thrust23THRUST_200600_302600_NS5tupleIbffNS6_9null_typeES8_S8_S8_S8_S8_S8_EEEEZNS1_11reduce_implILb1ES3_NS6_11hip_rocprim26transform_input_iterator_tIS9_NS6_12zip_iteratorINS7_INS6_17counting_iteratorIiNS6_11use_defaultESG_SG_EENS6_6detail15normal_iteratorINS6_10device_ptrIfEEEES8_S8_S8_S8_S8_S8_S8_S8_EEEE15transform_tupleIifEEEPS9_S9_12reduce_tupleIifEEE10hipError_tPvRmT1_T2_T3_mT4_P12ihipStream_tbEUlT_E0_NS1_11comp_targetILNS1_3genE0ELNS1_11target_archE4294967295ELNS1_3gpuE0ELNS1_3repE0EEENS1_30default_config_static_selectorELNS0_4arch9wavefront6targetE0EEEvSY_.kd
    .uniform_work_group_size: 1
    .uses_dynamic_stack: false
    .vgpr_count:     0
    .vgpr_spill_count: 0
    .wavefront_size: 32
    .workgroup_processor_mode: 1
  - .args:
      - .offset:         0
        .size:           80
        .value_kind:     by_value
    .group_segment_fixed_size: 0
    .kernarg_segment_align: 8
    .kernarg_segment_size: 80
    .language:       OpenCL C
    .language_version:
      - 2
      - 0
    .max_flat_workgroup_size: 256
    .name:           _ZN7rocprim17ROCPRIM_400000_NS6detail17trampoline_kernelINS0_14default_configENS1_22reduce_config_selectorIN6thrust23THRUST_200600_302600_NS5tupleIbffNS6_9null_typeES8_S8_S8_S8_S8_S8_EEEEZNS1_11reduce_implILb1ES3_NS6_11hip_rocprim26transform_input_iterator_tIS9_NS6_12zip_iteratorINS7_INS6_17counting_iteratorIiNS6_11use_defaultESG_SG_EENS6_6detail15normal_iteratorINS6_10device_ptrIfEEEES8_S8_S8_S8_S8_S8_S8_S8_EEEE15transform_tupleIifEEEPS9_S9_12reduce_tupleIifEEE10hipError_tPvRmT1_T2_T3_mT4_P12ihipStream_tbEUlT_E0_NS1_11comp_targetILNS1_3genE5ELNS1_11target_archE942ELNS1_3gpuE9ELNS1_3repE0EEENS1_30default_config_static_selectorELNS0_4arch9wavefront6targetE0EEEvSY_
    .private_segment_fixed_size: 0
    .sgpr_count:     0
    .sgpr_spill_count: 0
    .symbol:         _ZN7rocprim17ROCPRIM_400000_NS6detail17trampoline_kernelINS0_14default_configENS1_22reduce_config_selectorIN6thrust23THRUST_200600_302600_NS5tupleIbffNS6_9null_typeES8_S8_S8_S8_S8_S8_EEEEZNS1_11reduce_implILb1ES3_NS6_11hip_rocprim26transform_input_iterator_tIS9_NS6_12zip_iteratorINS7_INS6_17counting_iteratorIiNS6_11use_defaultESG_SG_EENS6_6detail15normal_iteratorINS6_10device_ptrIfEEEES8_S8_S8_S8_S8_S8_S8_S8_EEEE15transform_tupleIifEEEPS9_S9_12reduce_tupleIifEEE10hipError_tPvRmT1_T2_T3_mT4_P12ihipStream_tbEUlT_E0_NS1_11comp_targetILNS1_3genE5ELNS1_11target_archE942ELNS1_3gpuE9ELNS1_3repE0EEENS1_30default_config_static_selectorELNS0_4arch9wavefront6targetE0EEEvSY_.kd
    .uniform_work_group_size: 1
    .uses_dynamic_stack: false
    .vgpr_count:     0
    .vgpr_spill_count: 0
    .wavefront_size: 32
    .workgroup_processor_mode: 1
  - .args:
      - .offset:         0
        .size:           80
        .value_kind:     by_value
    .group_segment_fixed_size: 0
    .kernarg_segment_align: 8
    .kernarg_segment_size: 80
    .language:       OpenCL C
    .language_version:
      - 2
      - 0
    .max_flat_workgroup_size: 256
    .name:           _ZN7rocprim17ROCPRIM_400000_NS6detail17trampoline_kernelINS0_14default_configENS1_22reduce_config_selectorIN6thrust23THRUST_200600_302600_NS5tupleIbffNS6_9null_typeES8_S8_S8_S8_S8_S8_EEEEZNS1_11reduce_implILb1ES3_NS6_11hip_rocprim26transform_input_iterator_tIS9_NS6_12zip_iteratorINS7_INS6_17counting_iteratorIiNS6_11use_defaultESG_SG_EENS6_6detail15normal_iteratorINS6_10device_ptrIfEEEES8_S8_S8_S8_S8_S8_S8_S8_EEEE15transform_tupleIifEEEPS9_S9_12reduce_tupleIifEEE10hipError_tPvRmT1_T2_T3_mT4_P12ihipStream_tbEUlT_E0_NS1_11comp_targetILNS1_3genE4ELNS1_11target_archE910ELNS1_3gpuE8ELNS1_3repE0EEENS1_30default_config_static_selectorELNS0_4arch9wavefront6targetE0EEEvSY_
    .private_segment_fixed_size: 0
    .sgpr_count:     0
    .sgpr_spill_count: 0
    .symbol:         _ZN7rocprim17ROCPRIM_400000_NS6detail17trampoline_kernelINS0_14default_configENS1_22reduce_config_selectorIN6thrust23THRUST_200600_302600_NS5tupleIbffNS6_9null_typeES8_S8_S8_S8_S8_S8_EEEEZNS1_11reduce_implILb1ES3_NS6_11hip_rocprim26transform_input_iterator_tIS9_NS6_12zip_iteratorINS7_INS6_17counting_iteratorIiNS6_11use_defaultESG_SG_EENS6_6detail15normal_iteratorINS6_10device_ptrIfEEEES8_S8_S8_S8_S8_S8_S8_S8_EEEE15transform_tupleIifEEEPS9_S9_12reduce_tupleIifEEE10hipError_tPvRmT1_T2_T3_mT4_P12ihipStream_tbEUlT_E0_NS1_11comp_targetILNS1_3genE4ELNS1_11target_archE910ELNS1_3gpuE8ELNS1_3repE0EEENS1_30default_config_static_selectorELNS0_4arch9wavefront6targetE0EEEvSY_.kd
    .uniform_work_group_size: 1
    .uses_dynamic_stack: false
    .vgpr_count:     0
    .vgpr_spill_count: 0
    .wavefront_size: 32
    .workgroup_processor_mode: 1
  - .args:
      - .offset:         0
        .size:           80
        .value_kind:     by_value
    .group_segment_fixed_size: 0
    .kernarg_segment_align: 8
    .kernarg_segment_size: 80
    .language:       OpenCL C
    .language_version:
      - 2
      - 0
    .max_flat_workgroup_size: 128
    .name:           _ZN7rocprim17ROCPRIM_400000_NS6detail17trampoline_kernelINS0_14default_configENS1_22reduce_config_selectorIN6thrust23THRUST_200600_302600_NS5tupleIbffNS6_9null_typeES8_S8_S8_S8_S8_S8_EEEEZNS1_11reduce_implILb1ES3_NS6_11hip_rocprim26transform_input_iterator_tIS9_NS6_12zip_iteratorINS7_INS6_17counting_iteratorIiNS6_11use_defaultESG_SG_EENS6_6detail15normal_iteratorINS6_10device_ptrIfEEEES8_S8_S8_S8_S8_S8_S8_S8_EEEE15transform_tupleIifEEEPS9_S9_12reduce_tupleIifEEE10hipError_tPvRmT1_T2_T3_mT4_P12ihipStream_tbEUlT_E0_NS1_11comp_targetILNS1_3genE3ELNS1_11target_archE908ELNS1_3gpuE7ELNS1_3repE0EEENS1_30default_config_static_selectorELNS0_4arch9wavefront6targetE0EEEvSY_
    .private_segment_fixed_size: 0
    .sgpr_count:     0
    .sgpr_spill_count: 0
    .symbol:         _ZN7rocprim17ROCPRIM_400000_NS6detail17trampoline_kernelINS0_14default_configENS1_22reduce_config_selectorIN6thrust23THRUST_200600_302600_NS5tupleIbffNS6_9null_typeES8_S8_S8_S8_S8_S8_EEEEZNS1_11reduce_implILb1ES3_NS6_11hip_rocprim26transform_input_iterator_tIS9_NS6_12zip_iteratorINS7_INS6_17counting_iteratorIiNS6_11use_defaultESG_SG_EENS6_6detail15normal_iteratorINS6_10device_ptrIfEEEES8_S8_S8_S8_S8_S8_S8_S8_EEEE15transform_tupleIifEEEPS9_S9_12reduce_tupleIifEEE10hipError_tPvRmT1_T2_T3_mT4_P12ihipStream_tbEUlT_E0_NS1_11comp_targetILNS1_3genE3ELNS1_11target_archE908ELNS1_3gpuE7ELNS1_3repE0EEENS1_30default_config_static_selectorELNS0_4arch9wavefront6targetE0EEEvSY_.kd
    .uniform_work_group_size: 1
    .uses_dynamic_stack: false
    .vgpr_count:     0
    .vgpr_spill_count: 0
    .wavefront_size: 32
    .workgroup_processor_mode: 1
  - .args:
      - .offset:         0
        .size:           80
        .value_kind:     by_value
    .group_segment_fixed_size: 0
    .kernarg_segment_align: 8
    .kernarg_segment_size: 80
    .language:       OpenCL C
    .language_version:
      - 2
      - 0
    .max_flat_workgroup_size: 128
    .name:           _ZN7rocprim17ROCPRIM_400000_NS6detail17trampoline_kernelINS0_14default_configENS1_22reduce_config_selectorIN6thrust23THRUST_200600_302600_NS5tupleIbffNS6_9null_typeES8_S8_S8_S8_S8_S8_EEEEZNS1_11reduce_implILb1ES3_NS6_11hip_rocprim26transform_input_iterator_tIS9_NS6_12zip_iteratorINS7_INS6_17counting_iteratorIiNS6_11use_defaultESG_SG_EENS6_6detail15normal_iteratorINS6_10device_ptrIfEEEES8_S8_S8_S8_S8_S8_S8_S8_EEEE15transform_tupleIifEEEPS9_S9_12reduce_tupleIifEEE10hipError_tPvRmT1_T2_T3_mT4_P12ihipStream_tbEUlT_E0_NS1_11comp_targetILNS1_3genE2ELNS1_11target_archE906ELNS1_3gpuE6ELNS1_3repE0EEENS1_30default_config_static_selectorELNS0_4arch9wavefront6targetE0EEEvSY_
    .private_segment_fixed_size: 0
    .sgpr_count:     0
    .sgpr_spill_count: 0
    .symbol:         _ZN7rocprim17ROCPRIM_400000_NS6detail17trampoline_kernelINS0_14default_configENS1_22reduce_config_selectorIN6thrust23THRUST_200600_302600_NS5tupleIbffNS6_9null_typeES8_S8_S8_S8_S8_S8_EEEEZNS1_11reduce_implILb1ES3_NS6_11hip_rocprim26transform_input_iterator_tIS9_NS6_12zip_iteratorINS7_INS6_17counting_iteratorIiNS6_11use_defaultESG_SG_EENS6_6detail15normal_iteratorINS6_10device_ptrIfEEEES8_S8_S8_S8_S8_S8_S8_S8_EEEE15transform_tupleIifEEEPS9_S9_12reduce_tupleIifEEE10hipError_tPvRmT1_T2_T3_mT4_P12ihipStream_tbEUlT_E0_NS1_11comp_targetILNS1_3genE2ELNS1_11target_archE906ELNS1_3gpuE6ELNS1_3repE0EEENS1_30default_config_static_selectorELNS0_4arch9wavefront6targetE0EEEvSY_.kd
    .uniform_work_group_size: 1
    .uses_dynamic_stack: false
    .vgpr_count:     0
    .vgpr_spill_count: 0
    .wavefront_size: 32
    .workgroup_processor_mode: 1
  - .args:
      - .offset:         0
        .size:           80
        .value_kind:     by_value
    .group_segment_fixed_size: 0
    .kernarg_segment_align: 8
    .kernarg_segment_size: 80
    .language:       OpenCL C
    .language_version:
      - 2
      - 0
    .max_flat_workgroup_size: 256
    .name:           _ZN7rocprim17ROCPRIM_400000_NS6detail17trampoline_kernelINS0_14default_configENS1_22reduce_config_selectorIN6thrust23THRUST_200600_302600_NS5tupleIbffNS6_9null_typeES8_S8_S8_S8_S8_S8_EEEEZNS1_11reduce_implILb1ES3_NS6_11hip_rocprim26transform_input_iterator_tIS9_NS6_12zip_iteratorINS7_INS6_17counting_iteratorIiNS6_11use_defaultESG_SG_EENS6_6detail15normal_iteratorINS6_10device_ptrIfEEEES8_S8_S8_S8_S8_S8_S8_S8_EEEE15transform_tupleIifEEEPS9_S9_12reduce_tupleIifEEE10hipError_tPvRmT1_T2_T3_mT4_P12ihipStream_tbEUlT_E0_NS1_11comp_targetILNS1_3genE10ELNS1_11target_archE1201ELNS1_3gpuE5ELNS1_3repE0EEENS1_30default_config_static_selectorELNS0_4arch9wavefront6targetE0EEEvSY_
    .private_segment_fixed_size: 0
    .sgpr_count:     0
    .sgpr_spill_count: 0
    .symbol:         _ZN7rocprim17ROCPRIM_400000_NS6detail17trampoline_kernelINS0_14default_configENS1_22reduce_config_selectorIN6thrust23THRUST_200600_302600_NS5tupleIbffNS6_9null_typeES8_S8_S8_S8_S8_S8_EEEEZNS1_11reduce_implILb1ES3_NS6_11hip_rocprim26transform_input_iterator_tIS9_NS6_12zip_iteratorINS7_INS6_17counting_iteratorIiNS6_11use_defaultESG_SG_EENS6_6detail15normal_iteratorINS6_10device_ptrIfEEEES8_S8_S8_S8_S8_S8_S8_S8_EEEE15transform_tupleIifEEEPS9_S9_12reduce_tupleIifEEE10hipError_tPvRmT1_T2_T3_mT4_P12ihipStream_tbEUlT_E0_NS1_11comp_targetILNS1_3genE10ELNS1_11target_archE1201ELNS1_3gpuE5ELNS1_3repE0EEENS1_30default_config_static_selectorELNS0_4arch9wavefront6targetE0EEEvSY_.kd
    .uniform_work_group_size: 1
    .uses_dynamic_stack: false
    .vgpr_count:     0
    .vgpr_spill_count: 0
    .wavefront_size: 32
    .workgroup_processor_mode: 1
  - .args:
      - .offset:         0
        .size:           80
        .value_kind:     by_value
    .group_segment_fixed_size: 0
    .kernarg_segment_align: 8
    .kernarg_segment_size: 80
    .language:       OpenCL C
    .language_version:
      - 2
      - 0
    .max_flat_workgroup_size: 256
    .name:           _ZN7rocprim17ROCPRIM_400000_NS6detail17trampoline_kernelINS0_14default_configENS1_22reduce_config_selectorIN6thrust23THRUST_200600_302600_NS5tupleIbffNS6_9null_typeES8_S8_S8_S8_S8_S8_EEEEZNS1_11reduce_implILb1ES3_NS6_11hip_rocprim26transform_input_iterator_tIS9_NS6_12zip_iteratorINS7_INS6_17counting_iteratorIiNS6_11use_defaultESG_SG_EENS6_6detail15normal_iteratorINS6_10device_ptrIfEEEES8_S8_S8_S8_S8_S8_S8_S8_EEEE15transform_tupleIifEEEPS9_S9_12reduce_tupleIifEEE10hipError_tPvRmT1_T2_T3_mT4_P12ihipStream_tbEUlT_E0_NS1_11comp_targetILNS1_3genE10ELNS1_11target_archE1200ELNS1_3gpuE4ELNS1_3repE0EEENS1_30default_config_static_selectorELNS0_4arch9wavefront6targetE0EEEvSY_
    .private_segment_fixed_size: 0
    .sgpr_count:     0
    .sgpr_spill_count: 0
    .symbol:         _ZN7rocprim17ROCPRIM_400000_NS6detail17trampoline_kernelINS0_14default_configENS1_22reduce_config_selectorIN6thrust23THRUST_200600_302600_NS5tupleIbffNS6_9null_typeES8_S8_S8_S8_S8_S8_EEEEZNS1_11reduce_implILb1ES3_NS6_11hip_rocprim26transform_input_iterator_tIS9_NS6_12zip_iteratorINS7_INS6_17counting_iteratorIiNS6_11use_defaultESG_SG_EENS6_6detail15normal_iteratorINS6_10device_ptrIfEEEES8_S8_S8_S8_S8_S8_S8_S8_EEEE15transform_tupleIifEEEPS9_S9_12reduce_tupleIifEEE10hipError_tPvRmT1_T2_T3_mT4_P12ihipStream_tbEUlT_E0_NS1_11comp_targetILNS1_3genE10ELNS1_11target_archE1200ELNS1_3gpuE4ELNS1_3repE0EEENS1_30default_config_static_selectorELNS0_4arch9wavefront6targetE0EEEvSY_.kd
    .uniform_work_group_size: 1
    .uses_dynamic_stack: false
    .vgpr_count:     0
    .vgpr_spill_count: 0
    .wavefront_size: 32
    .workgroup_processor_mode: 1
  - .args:
      - .offset:         0
        .size:           80
        .value_kind:     by_value
    .group_segment_fixed_size: 192
    .kernarg_segment_align: 8
    .kernarg_segment_size: 80
    .language:       OpenCL C
    .language_version:
      - 2
      - 0
    .max_flat_workgroup_size: 256
    .name:           _ZN7rocprim17ROCPRIM_400000_NS6detail17trampoline_kernelINS0_14default_configENS1_22reduce_config_selectorIN6thrust23THRUST_200600_302600_NS5tupleIbffNS6_9null_typeES8_S8_S8_S8_S8_S8_EEEEZNS1_11reduce_implILb1ES3_NS6_11hip_rocprim26transform_input_iterator_tIS9_NS6_12zip_iteratorINS7_INS6_17counting_iteratorIiNS6_11use_defaultESG_SG_EENS6_6detail15normal_iteratorINS6_10device_ptrIfEEEES8_S8_S8_S8_S8_S8_S8_S8_EEEE15transform_tupleIifEEEPS9_S9_12reduce_tupleIifEEE10hipError_tPvRmT1_T2_T3_mT4_P12ihipStream_tbEUlT_E0_NS1_11comp_targetILNS1_3genE9ELNS1_11target_archE1100ELNS1_3gpuE3ELNS1_3repE0EEENS1_30default_config_static_selectorELNS0_4arch9wavefront6targetE0EEEvSY_
    .private_segment_fixed_size: 0
    .sgpr_count:     26
    .sgpr_spill_count: 0
    .symbol:         _ZN7rocprim17ROCPRIM_400000_NS6detail17trampoline_kernelINS0_14default_configENS1_22reduce_config_selectorIN6thrust23THRUST_200600_302600_NS5tupleIbffNS6_9null_typeES8_S8_S8_S8_S8_S8_EEEEZNS1_11reduce_implILb1ES3_NS6_11hip_rocprim26transform_input_iterator_tIS9_NS6_12zip_iteratorINS7_INS6_17counting_iteratorIiNS6_11use_defaultESG_SG_EENS6_6detail15normal_iteratorINS6_10device_ptrIfEEEES8_S8_S8_S8_S8_S8_S8_S8_EEEE15transform_tupleIifEEEPS9_S9_12reduce_tupleIifEEE10hipError_tPvRmT1_T2_T3_mT4_P12ihipStream_tbEUlT_E0_NS1_11comp_targetILNS1_3genE9ELNS1_11target_archE1100ELNS1_3gpuE3ELNS1_3repE0EEENS1_30default_config_static_selectorELNS0_4arch9wavefront6targetE0EEEvSY_.kd
    .uniform_work_group_size: 1
    .uses_dynamic_stack: false
    .vgpr_count:     16
    .vgpr_spill_count: 0
    .wavefront_size: 32
    .workgroup_processor_mode: 1
  - .args:
      - .offset:         0
        .size:           80
        .value_kind:     by_value
    .group_segment_fixed_size: 0
    .kernarg_segment_align: 8
    .kernarg_segment_size: 80
    .language:       OpenCL C
    .language_version:
      - 2
      - 0
    .max_flat_workgroup_size: 256
    .name:           _ZN7rocprim17ROCPRIM_400000_NS6detail17trampoline_kernelINS0_14default_configENS1_22reduce_config_selectorIN6thrust23THRUST_200600_302600_NS5tupleIbffNS6_9null_typeES8_S8_S8_S8_S8_S8_EEEEZNS1_11reduce_implILb1ES3_NS6_11hip_rocprim26transform_input_iterator_tIS9_NS6_12zip_iteratorINS7_INS6_17counting_iteratorIiNS6_11use_defaultESG_SG_EENS6_6detail15normal_iteratorINS6_10device_ptrIfEEEES8_S8_S8_S8_S8_S8_S8_S8_EEEE15transform_tupleIifEEEPS9_S9_12reduce_tupleIifEEE10hipError_tPvRmT1_T2_T3_mT4_P12ihipStream_tbEUlT_E0_NS1_11comp_targetILNS1_3genE8ELNS1_11target_archE1030ELNS1_3gpuE2ELNS1_3repE0EEENS1_30default_config_static_selectorELNS0_4arch9wavefront6targetE0EEEvSY_
    .private_segment_fixed_size: 0
    .sgpr_count:     0
    .sgpr_spill_count: 0
    .symbol:         _ZN7rocprim17ROCPRIM_400000_NS6detail17trampoline_kernelINS0_14default_configENS1_22reduce_config_selectorIN6thrust23THRUST_200600_302600_NS5tupleIbffNS6_9null_typeES8_S8_S8_S8_S8_S8_EEEEZNS1_11reduce_implILb1ES3_NS6_11hip_rocprim26transform_input_iterator_tIS9_NS6_12zip_iteratorINS7_INS6_17counting_iteratorIiNS6_11use_defaultESG_SG_EENS6_6detail15normal_iteratorINS6_10device_ptrIfEEEES8_S8_S8_S8_S8_S8_S8_S8_EEEE15transform_tupleIifEEEPS9_S9_12reduce_tupleIifEEE10hipError_tPvRmT1_T2_T3_mT4_P12ihipStream_tbEUlT_E0_NS1_11comp_targetILNS1_3genE8ELNS1_11target_archE1030ELNS1_3gpuE2ELNS1_3repE0EEENS1_30default_config_static_selectorELNS0_4arch9wavefront6targetE0EEEvSY_.kd
    .uniform_work_group_size: 1
    .uses_dynamic_stack: false
    .vgpr_count:     0
    .vgpr_spill_count: 0
    .wavefront_size: 32
    .workgroup_processor_mode: 1
  - .args:
      - .offset:         0
        .size:           64
        .value_kind:     by_value
    .group_segment_fixed_size: 0
    .kernarg_segment_align: 8
    .kernarg_segment_size: 64
    .language:       OpenCL C
    .language_version:
      - 2
      - 0
    .max_flat_workgroup_size: 128
    .name:           _ZN7rocprim17ROCPRIM_400000_NS6detail17trampoline_kernelINS0_14default_configENS1_22reduce_config_selectorIN6thrust23THRUST_200600_302600_NS5tupleIbffNS6_9null_typeES8_S8_S8_S8_S8_S8_EEEEZNS1_11reduce_implILb1ES3_NS6_11hip_rocprim26transform_input_iterator_tIS9_NS6_12zip_iteratorINS7_INS6_17counting_iteratorIiNS6_11use_defaultESG_SG_EENS6_6detail15normal_iteratorINS6_10device_ptrIfEEEES8_S8_S8_S8_S8_S8_S8_S8_EEEE15transform_tupleIifEEEPS9_S9_12reduce_tupleIifEEE10hipError_tPvRmT1_T2_T3_mT4_P12ihipStream_tbEUlT_E1_NS1_11comp_targetILNS1_3genE0ELNS1_11target_archE4294967295ELNS1_3gpuE0ELNS1_3repE0EEENS1_30default_config_static_selectorELNS0_4arch9wavefront6targetE0EEEvSY_
    .private_segment_fixed_size: 0
    .sgpr_count:     0
    .sgpr_spill_count: 0
    .symbol:         _ZN7rocprim17ROCPRIM_400000_NS6detail17trampoline_kernelINS0_14default_configENS1_22reduce_config_selectorIN6thrust23THRUST_200600_302600_NS5tupleIbffNS6_9null_typeES8_S8_S8_S8_S8_S8_EEEEZNS1_11reduce_implILb1ES3_NS6_11hip_rocprim26transform_input_iterator_tIS9_NS6_12zip_iteratorINS7_INS6_17counting_iteratorIiNS6_11use_defaultESG_SG_EENS6_6detail15normal_iteratorINS6_10device_ptrIfEEEES8_S8_S8_S8_S8_S8_S8_S8_EEEE15transform_tupleIifEEEPS9_S9_12reduce_tupleIifEEE10hipError_tPvRmT1_T2_T3_mT4_P12ihipStream_tbEUlT_E1_NS1_11comp_targetILNS1_3genE0ELNS1_11target_archE4294967295ELNS1_3gpuE0ELNS1_3repE0EEENS1_30default_config_static_selectorELNS0_4arch9wavefront6targetE0EEEvSY_.kd
    .uniform_work_group_size: 1
    .uses_dynamic_stack: false
    .vgpr_count:     0
    .vgpr_spill_count: 0
    .wavefront_size: 32
    .workgroup_processor_mode: 1
  - .args:
      - .offset:         0
        .size:           64
        .value_kind:     by_value
    .group_segment_fixed_size: 0
    .kernarg_segment_align: 8
    .kernarg_segment_size: 64
    .language:       OpenCL C
    .language_version:
      - 2
      - 0
    .max_flat_workgroup_size: 256
    .name:           _ZN7rocprim17ROCPRIM_400000_NS6detail17trampoline_kernelINS0_14default_configENS1_22reduce_config_selectorIN6thrust23THRUST_200600_302600_NS5tupleIbffNS6_9null_typeES8_S8_S8_S8_S8_S8_EEEEZNS1_11reduce_implILb1ES3_NS6_11hip_rocprim26transform_input_iterator_tIS9_NS6_12zip_iteratorINS7_INS6_17counting_iteratorIiNS6_11use_defaultESG_SG_EENS6_6detail15normal_iteratorINS6_10device_ptrIfEEEES8_S8_S8_S8_S8_S8_S8_S8_EEEE15transform_tupleIifEEEPS9_S9_12reduce_tupleIifEEE10hipError_tPvRmT1_T2_T3_mT4_P12ihipStream_tbEUlT_E1_NS1_11comp_targetILNS1_3genE5ELNS1_11target_archE942ELNS1_3gpuE9ELNS1_3repE0EEENS1_30default_config_static_selectorELNS0_4arch9wavefront6targetE0EEEvSY_
    .private_segment_fixed_size: 0
    .sgpr_count:     0
    .sgpr_spill_count: 0
    .symbol:         _ZN7rocprim17ROCPRIM_400000_NS6detail17trampoline_kernelINS0_14default_configENS1_22reduce_config_selectorIN6thrust23THRUST_200600_302600_NS5tupleIbffNS6_9null_typeES8_S8_S8_S8_S8_S8_EEEEZNS1_11reduce_implILb1ES3_NS6_11hip_rocprim26transform_input_iterator_tIS9_NS6_12zip_iteratorINS7_INS6_17counting_iteratorIiNS6_11use_defaultESG_SG_EENS6_6detail15normal_iteratorINS6_10device_ptrIfEEEES8_S8_S8_S8_S8_S8_S8_S8_EEEE15transform_tupleIifEEEPS9_S9_12reduce_tupleIifEEE10hipError_tPvRmT1_T2_T3_mT4_P12ihipStream_tbEUlT_E1_NS1_11comp_targetILNS1_3genE5ELNS1_11target_archE942ELNS1_3gpuE9ELNS1_3repE0EEENS1_30default_config_static_selectorELNS0_4arch9wavefront6targetE0EEEvSY_.kd
    .uniform_work_group_size: 1
    .uses_dynamic_stack: false
    .vgpr_count:     0
    .vgpr_spill_count: 0
    .wavefront_size: 32
    .workgroup_processor_mode: 1
  - .args:
      - .offset:         0
        .size:           64
        .value_kind:     by_value
    .group_segment_fixed_size: 0
    .kernarg_segment_align: 8
    .kernarg_segment_size: 64
    .language:       OpenCL C
    .language_version:
      - 2
      - 0
    .max_flat_workgroup_size: 256
    .name:           _ZN7rocprim17ROCPRIM_400000_NS6detail17trampoline_kernelINS0_14default_configENS1_22reduce_config_selectorIN6thrust23THRUST_200600_302600_NS5tupleIbffNS6_9null_typeES8_S8_S8_S8_S8_S8_EEEEZNS1_11reduce_implILb1ES3_NS6_11hip_rocprim26transform_input_iterator_tIS9_NS6_12zip_iteratorINS7_INS6_17counting_iteratorIiNS6_11use_defaultESG_SG_EENS6_6detail15normal_iteratorINS6_10device_ptrIfEEEES8_S8_S8_S8_S8_S8_S8_S8_EEEE15transform_tupleIifEEEPS9_S9_12reduce_tupleIifEEE10hipError_tPvRmT1_T2_T3_mT4_P12ihipStream_tbEUlT_E1_NS1_11comp_targetILNS1_3genE4ELNS1_11target_archE910ELNS1_3gpuE8ELNS1_3repE0EEENS1_30default_config_static_selectorELNS0_4arch9wavefront6targetE0EEEvSY_
    .private_segment_fixed_size: 0
    .sgpr_count:     0
    .sgpr_spill_count: 0
    .symbol:         _ZN7rocprim17ROCPRIM_400000_NS6detail17trampoline_kernelINS0_14default_configENS1_22reduce_config_selectorIN6thrust23THRUST_200600_302600_NS5tupleIbffNS6_9null_typeES8_S8_S8_S8_S8_S8_EEEEZNS1_11reduce_implILb1ES3_NS6_11hip_rocprim26transform_input_iterator_tIS9_NS6_12zip_iteratorINS7_INS6_17counting_iteratorIiNS6_11use_defaultESG_SG_EENS6_6detail15normal_iteratorINS6_10device_ptrIfEEEES8_S8_S8_S8_S8_S8_S8_S8_EEEE15transform_tupleIifEEEPS9_S9_12reduce_tupleIifEEE10hipError_tPvRmT1_T2_T3_mT4_P12ihipStream_tbEUlT_E1_NS1_11comp_targetILNS1_3genE4ELNS1_11target_archE910ELNS1_3gpuE8ELNS1_3repE0EEENS1_30default_config_static_selectorELNS0_4arch9wavefront6targetE0EEEvSY_.kd
    .uniform_work_group_size: 1
    .uses_dynamic_stack: false
    .vgpr_count:     0
    .vgpr_spill_count: 0
    .wavefront_size: 32
    .workgroup_processor_mode: 1
  - .args:
      - .offset:         0
        .size:           64
        .value_kind:     by_value
    .group_segment_fixed_size: 0
    .kernarg_segment_align: 8
    .kernarg_segment_size: 64
    .language:       OpenCL C
    .language_version:
      - 2
      - 0
    .max_flat_workgroup_size: 128
    .name:           _ZN7rocprim17ROCPRIM_400000_NS6detail17trampoline_kernelINS0_14default_configENS1_22reduce_config_selectorIN6thrust23THRUST_200600_302600_NS5tupleIbffNS6_9null_typeES8_S8_S8_S8_S8_S8_EEEEZNS1_11reduce_implILb1ES3_NS6_11hip_rocprim26transform_input_iterator_tIS9_NS6_12zip_iteratorINS7_INS6_17counting_iteratorIiNS6_11use_defaultESG_SG_EENS6_6detail15normal_iteratorINS6_10device_ptrIfEEEES8_S8_S8_S8_S8_S8_S8_S8_EEEE15transform_tupleIifEEEPS9_S9_12reduce_tupleIifEEE10hipError_tPvRmT1_T2_T3_mT4_P12ihipStream_tbEUlT_E1_NS1_11comp_targetILNS1_3genE3ELNS1_11target_archE908ELNS1_3gpuE7ELNS1_3repE0EEENS1_30default_config_static_selectorELNS0_4arch9wavefront6targetE0EEEvSY_
    .private_segment_fixed_size: 0
    .sgpr_count:     0
    .sgpr_spill_count: 0
    .symbol:         _ZN7rocprim17ROCPRIM_400000_NS6detail17trampoline_kernelINS0_14default_configENS1_22reduce_config_selectorIN6thrust23THRUST_200600_302600_NS5tupleIbffNS6_9null_typeES8_S8_S8_S8_S8_S8_EEEEZNS1_11reduce_implILb1ES3_NS6_11hip_rocprim26transform_input_iterator_tIS9_NS6_12zip_iteratorINS7_INS6_17counting_iteratorIiNS6_11use_defaultESG_SG_EENS6_6detail15normal_iteratorINS6_10device_ptrIfEEEES8_S8_S8_S8_S8_S8_S8_S8_EEEE15transform_tupleIifEEEPS9_S9_12reduce_tupleIifEEE10hipError_tPvRmT1_T2_T3_mT4_P12ihipStream_tbEUlT_E1_NS1_11comp_targetILNS1_3genE3ELNS1_11target_archE908ELNS1_3gpuE7ELNS1_3repE0EEENS1_30default_config_static_selectorELNS0_4arch9wavefront6targetE0EEEvSY_.kd
    .uniform_work_group_size: 1
    .uses_dynamic_stack: false
    .vgpr_count:     0
    .vgpr_spill_count: 0
    .wavefront_size: 32
    .workgroup_processor_mode: 1
  - .args:
      - .offset:         0
        .size:           64
        .value_kind:     by_value
    .group_segment_fixed_size: 0
    .kernarg_segment_align: 8
    .kernarg_segment_size: 64
    .language:       OpenCL C
    .language_version:
      - 2
      - 0
    .max_flat_workgroup_size: 128
    .name:           _ZN7rocprim17ROCPRIM_400000_NS6detail17trampoline_kernelINS0_14default_configENS1_22reduce_config_selectorIN6thrust23THRUST_200600_302600_NS5tupleIbffNS6_9null_typeES8_S8_S8_S8_S8_S8_EEEEZNS1_11reduce_implILb1ES3_NS6_11hip_rocprim26transform_input_iterator_tIS9_NS6_12zip_iteratorINS7_INS6_17counting_iteratorIiNS6_11use_defaultESG_SG_EENS6_6detail15normal_iteratorINS6_10device_ptrIfEEEES8_S8_S8_S8_S8_S8_S8_S8_EEEE15transform_tupleIifEEEPS9_S9_12reduce_tupleIifEEE10hipError_tPvRmT1_T2_T3_mT4_P12ihipStream_tbEUlT_E1_NS1_11comp_targetILNS1_3genE2ELNS1_11target_archE906ELNS1_3gpuE6ELNS1_3repE0EEENS1_30default_config_static_selectorELNS0_4arch9wavefront6targetE0EEEvSY_
    .private_segment_fixed_size: 0
    .sgpr_count:     0
    .sgpr_spill_count: 0
    .symbol:         _ZN7rocprim17ROCPRIM_400000_NS6detail17trampoline_kernelINS0_14default_configENS1_22reduce_config_selectorIN6thrust23THRUST_200600_302600_NS5tupleIbffNS6_9null_typeES8_S8_S8_S8_S8_S8_EEEEZNS1_11reduce_implILb1ES3_NS6_11hip_rocprim26transform_input_iterator_tIS9_NS6_12zip_iteratorINS7_INS6_17counting_iteratorIiNS6_11use_defaultESG_SG_EENS6_6detail15normal_iteratorINS6_10device_ptrIfEEEES8_S8_S8_S8_S8_S8_S8_S8_EEEE15transform_tupleIifEEEPS9_S9_12reduce_tupleIifEEE10hipError_tPvRmT1_T2_T3_mT4_P12ihipStream_tbEUlT_E1_NS1_11comp_targetILNS1_3genE2ELNS1_11target_archE906ELNS1_3gpuE6ELNS1_3repE0EEENS1_30default_config_static_selectorELNS0_4arch9wavefront6targetE0EEEvSY_.kd
    .uniform_work_group_size: 1
    .uses_dynamic_stack: false
    .vgpr_count:     0
    .vgpr_spill_count: 0
    .wavefront_size: 32
    .workgroup_processor_mode: 1
  - .args:
      - .offset:         0
        .size:           64
        .value_kind:     by_value
    .group_segment_fixed_size: 0
    .kernarg_segment_align: 8
    .kernarg_segment_size: 64
    .language:       OpenCL C
    .language_version:
      - 2
      - 0
    .max_flat_workgroup_size: 256
    .name:           _ZN7rocprim17ROCPRIM_400000_NS6detail17trampoline_kernelINS0_14default_configENS1_22reduce_config_selectorIN6thrust23THRUST_200600_302600_NS5tupleIbffNS6_9null_typeES8_S8_S8_S8_S8_S8_EEEEZNS1_11reduce_implILb1ES3_NS6_11hip_rocprim26transform_input_iterator_tIS9_NS6_12zip_iteratorINS7_INS6_17counting_iteratorIiNS6_11use_defaultESG_SG_EENS6_6detail15normal_iteratorINS6_10device_ptrIfEEEES8_S8_S8_S8_S8_S8_S8_S8_EEEE15transform_tupleIifEEEPS9_S9_12reduce_tupleIifEEE10hipError_tPvRmT1_T2_T3_mT4_P12ihipStream_tbEUlT_E1_NS1_11comp_targetILNS1_3genE10ELNS1_11target_archE1201ELNS1_3gpuE5ELNS1_3repE0EEENS1_30default_config_static_selectorELNS0_4arch9wavefront6targetE0EEEvSY_
    .private_segment_fixed_size: 0
    .sgpr_count:     0
    .sgpr_spill_count: 0
    .symbol:         _ZN7rocprim17ROCPRIM_400000_NS6detail17trampoline_kernelINS0_14default_configENS1_22reduce_config_selectorIN6thrust23THRUST_200600_302600_NS5tupleIbffNS6_9null_typeES8_S8_S8_S8_S8_S8_EEEEZNS1_11reduce_implILb1ES3_NS6_11hip_rocprim26transform_input_iterator_tIS9_NS6_12zip_iteratorINS7_INS6_17counting_iteratorIiNS6_11use_defaultESG_SG_EENS6_6detail15normal_iteratorINS6_10device_ptrIfEEEES8_S8_S8_S8_S8_S8_S8_S8_EEEE15transform_tupleIifEEEPS9_S9_12reduce_tupleIifEEE10hipError_tPvRmT1_T2_T3_mT4_P12ihipStream_tbEUlT_E1_NS1_11comp_targetILNS1_3genE10ELNS1_11target_archE1201ELNS1_3gpuE5ELNS1_3repE0EEENS1_30default_config_static_selectorELNS0_4arch9wavefront6targetE0EEEvSY_.kd
    .uniform_work_group_size: 1
    .uses_dynamic_stack: false
    .vgpr_count:     0
    .vgpr_spill_count: 0
    .wavefront_size: 32
    .workgroup_processor_mode: 1
  - .args:
      - .offset:         0
        .size:           64
        .value_kind:     by_value
    .group_segment_fixed_size: 0
    .kernarg_segment_align: 8
    .kernarg_segment_size: 64
    .language:       OpenCL C
    .language_version:
      - 2
      - 0
    .max_flat_workgroup_size: 256
    .name:           _ZN7rocprim17ROCPRIM_400000_NS6detail17trampoline_kernelINS0_14default_configENS1_22reduce_config_selectorIN6thrust23THRUST_200600_302600_NS5tupleIbffNS6_9null_typeES8_S8_S8_S8_S8_S8_EEEEZNS1_11reduce_implILb1ES3_NS6_11hip_rocprim26transform_input_iterator_tIS9_NS6_12zip_iteratorINS7_INS6_17counting_iteratorIiNS6_11use_defaultESG_SG_EENS6_6detail15normal_iteratorINS6_10device_ptrIfEEEES8_S8_S8_S8_S8_S8_S8_S8_EEEE15transform_tupleIifEEEPS9_S9_12reduce_tupleIifEEE10hipError_tPvRmT1_T2_T3_mT4_P12ihipStream_tbEUlT_E1_NS1_11comp_targetILNS1_3genE10ELNS1_11target_archE1200ELNS1_3gpuE4ELNS1_3repE0EEENS1_30default_config_static_selectorELNS0_4arch9wavefront6targetE0EEEvSY_
    .private_segment_fixed_size: 0
    .sgpr_count:     0
    .sgpr_spill_count: 0
    .symbol:         _ZN7rocprim17ROCPRIM_400000_NS6detail17trampoline_kernelINS0_14default_configENS1_22reduce_config_selectorIN6thrust23THRUST_200600_302600_NS5tupleIbffNS6_9null_typeES8_S8_S8_S8_S8_S8_EEEEZNS1_11reduce_implILb1ES3_NS6_11hip_rocprim26transform_input_iterator_tIS9_NS6_12zip_iteratorINS7_INS6_17counting_iteratorIiNS6_11use_defaultESG_SG_EENS6_6detail15normal_iteratorINS6_10device_ptrIfEEEES8_S8_S8_S8_S8_S8_S8_S8_EEEE15transform_tupleIifEEEPS9_S9_12reduce_tupleIifEEE10hipError_tPvRmT1_T2_T3_mT4_P12ihipStream_tbEUlT_E1_NS1_11comp_targetILNS1_3genE10ELNS1_11target_archE1200ELNS1_3gpuE4ELNS1_3repE0EEENS1_30default_config_static_selectorELNS0_4arch9wavefront6targetE0EEEvSY_.kd
    .uniform_work_group_size: 1
    .uses_dynamic_stack: false
    .vgpr_count:     0
    .vgpr_spill_count: 0
    .wavefront_size: 32
    .workgroup_processor_mode: 1
  - .args:
      - .offset:         0
        .size:           64
        .value_kind:     by_value
    .group_segment_fixed_size: 576
    .kernarg_segment_align: 8
    .kernarg_segment_size: 64
    .language:       OpenCL C
    .language_version:
      - 2
      - 0
    .max_flat_workgroup_size: 256
    .name:           _ZN7rocprim17ROCPRIM_400000_NS6detail17trampoline_kernelINS0_14default_configENS1_22reduce_config_selectorIN6thrust23THRUST_200600_302600_NS5tupleIbffNS6_9null_typeES8_S8_S8_S8_S8_S8_EEEEZNS1_11reduce_implILb1ES3_NS6_11hip_rocprim26transform_input_iterator_tIS9_NS6_12zip_iteratorINS7_INS6_17counting_iteratorIiNS6_11use_defaultESG_SG_EENS6_6detail15normal_iteratorINS6_10device_ptrIfEEEES8_S8_S8_S8_S8_S8_S8_S8_EEEE15transform_tupleIifEEEPS9_S9_12reduce_tupleIifEEE10hipError_tPvRmT1_T2_T3_mT4_P12ihipStream_tbEUlT_E1_NS1_11comp_targetILNS1_3genE9ELNS1_11target_archE1100ELNS1_3gpuE3ELNS1_3repE0EEENS1_30default_config_static_selectorELNS0_4arch9wavefront6targetE0EEEvSY_
    .private_segment_fixed_size: 0
    .sgpr_count:     40
    .sgpr_spill_count: 0
    .symbol:         _ZN7rocprim17ROCPRIM_400000_NS6detail17trampoline_kernelINS0_14default_configENS1_22reduce_config_selectorIN6thrust23THRUST_200600_302600_NS5tupleIbffNS6_9null_typeES8_S8_S8_S8_S8_S8_EEEEZNS1_11reduce_implILb1ES3_NS6_11hip_rocprim26transform_input_iterator_tIS9_NS6_12zip_iteratorINS7_INS6_17counting_iteratorIiNS6_11use_defaultESG_SG_EENS6_6detail15normal_iteratorINS6_10device_ptrIfEEEES8_S8_S8_S8_S8_S8_S8_S8_EEEE15transform_tupleIifEEEPS9_S9_12reduce_tupleIifEEE10hipError_tPvRmT1_T2_T3_mT4_P12ihipStream_tbEUlT_E1_NS1_11comp_targetILNS1_3genE9ELNS1_11target_archE1100ELNS1_3gpuE3ELNS1_3repE0EEENS1_30default_config_static_selectorELNS0_4arch9wavefront6targetE0EEEvSY_.kd
    .uniform_work_group_size: 1
    .uses_dynamic_stack: false
    .vgpr_count:     64
    .vgpr_spill_count: 0
    .wavefront_size: 32
    .workgroup_processor_mode: 1
  - .args:
      - .offset:         0
        .size:           64
        .value_kind:     by_value
    .group_segment_fixed_size: 0
    .kernarg_segment_align: 8
    .kernarg_segment_size: 64
    .language:       OpenCL C
    .language_version:
      - 2
      - 0
    .max_flat_workgroup_size: 256
    .name:           _ZN7rocprim17ROCPRIM_400000_NS6detail17trampoline_kernelINS0_14default_configENS1_22reduce_config_selectorIN6thrust23THRUST_200600_302600_NS5tupleIbffNS6_9null_typeES8_S8_S8_S8_S8_S8_EEEEZNS1_11reduce_implILb1ES3_NS6_11hip_rocprim26transform_input_iterator_tIS9_NS6_12zip_iteratorINS7_INS6_17counting_iteratorIiNS6_11use_defaultESG_SG_EENS6_6detail15normal_iteratorINS6_10device_ptrIfEEEES8_S8_S8_S8_S8_S8_S8_S8_EEEE15transform_tupleIifEEEPS9_S9_12reduce_tupleIifEEE10hipError_tPvRmT1_T2_T3_mT4_P12ihipStream_tbEUlT_E1_NS1_11comp_targetILNS1_3genE8ELNS1_11target_archE1030ELNS1_3gpuE2ELNS1_3repE0EEENS1_30default_config_static_selectorELNS0_4arch9wavefront6targetE0EEEvSY_
    .private_segment_fixed_size: 0
    .sgpr_count:     0
    .sgpr_spill_count: 0
    .symbol:         _ZN7rocprim17ROCPRIM_400000_NS6detail17trampoline_kernelINS0_14default_configENS1_22reduce_config_selectorIN6thrust23THRUST_200600_302600_NS5tupleIbffNS6_9null_typeES8_S8_S8_S8_S8_S8_EEEEZNS1_11reduce_implILb1ES3_NS6_11hip_rocprim26transform_input_iterator_tIS9_NS6_12zip_iteratorINS7_INS6_17counting_iteratorIiNS6_11use_defaultESG_SG_EENS6_6detail15normal_iteratorINS6_10device_ptrIfEEEES8_S8_S8_S8_S8_S8_S8_S8_EEEE15transform_tupleIifEEEPS9_S9_12reduce_tupleIifEEE10hipError_tPvRmT1_T2_T3_mT4_P12ihipStream_tbEUlT_E1_NS1_11comp_targetILNS1_3genE8ELNS1_11target_archE1030ELNS1_3gpuE2ELNS1_3repE0EEENS1_30default_config_static_selectorELNS0_4arch9wavefront6targetE0EEEvSY_.kd
    .uniform_work_group_size: 1
    .uses_dynamic_stack: false
    .vgpr_count:     0
    .vgpr_spill_count: 0
    .wavefront_size: 32
    .workgroup_processor_mode: 1
  - .args:
      - .offset:         0
        .size:           16
        .value_kind:     by_value
      - .offset:         16
        .size:           8
        .value_kind:     by_value
      - .offset:         24
        .size:           8
        .value_kind:     by_value
    .group_segment_fixed_size: 0
    .kernarg_segment_align: 8
    .kernarg_segment_size: 32
    .language:       OpenCL C
    .language_version:
      - 2
      - 0
    .max_flat_workgroup_size: 256
    .name:           _ZN6thrust23THRUST_200600_302600_NS11hip_rocprim14__parallel_for6kernelILj256ENS1_10for_each_fINS0_7pointerINS0_5tupleIbffNS0_9null_typeES7_S7_S7_S7_S7_S7_EENS1_3tagENS0_11use_defaultESA_EENS0_6detail16wrapped_functionINSC_23allocator_traits_detail24construct1_via_allocatorINSC_18no_throw_allocatorINSC_19temporary_allocatorIS8_S9_EEEEEEvEEEEmLj1EEEvT0_T1_SO_
    .private_segment_fixed_size: 0
    .sgpr_count:     18
    .sgpr_spill_count: 0
    .symbol:         _ZN6thrust23THRUST_200600_302600_NS11hip_rocprim14__parallel_for6kernelILj256ENS1_10for_each_fINS0_7pointerINS0_5tupleIbffNS0_9null_typeES7_S7_S7_S7_S7_S7_EENS1_3tagENS0_11use_defaultESA_EENS0_6detail16wrapped_functionINSC_23allocator_traits_detail24construct1_via_allocatorINSC_18no_throw_allocatorINSC_19temporary_allocatorIS8_S9_EEEEEEvEEEEmLj1EEEvT0_T1_SO_.kd
    .uniform_work_group_size: 1
    .uses_dynamic_stack: false
    .vgpr_count:     5
    .vgpr_spill_count: 0
    .wavefront_size: 32
    .workgroup_processor_mode: 1
  - .args:
      - .offset:         0
        .size:           16
        .value_kind:     by_value
      - .offset:         16
        .size:           8
        .value_kind:     by_value
      - .offset:         24
        .size:           8
        .value_kind:     by_value
    .group_segment_fixed_size: 0
    .kernarg_segment_align: 8
    .kernarg_segment_size: 32
    .language:       OpenCL C
    .language_version:
      - 2
      - 0
    .max_flat_workgroup_size: 256
    .name:           _ZN6thrust23THRUST_200600_302600_NS11hip_rocprim14__parallel_for6kernelILj256ENS1_10for_each_fINS0_7pointerINS0_5tupleIbffNS0_9null_typeES7_S7_S7_S7_S7_S7_EENS1_3tagENS0_11use_defaultESA_EENS0_6detail16wrapped_functionINSC_23allocator_traits_detail5gozerEvEEEElLj1EEEvT0_T1_SJ_
    .private_segment_fixed_size: 0
    .sgpr_count:     0
    .sgpr_spill_count: 0
    .symbol:         _ZN6thrust23THRUST_200600_302600_NS11hip_rocprim14__parallel_for6kernelILj256ENS1_10for_each_fINS0_7pointerINS0_5tupleIbffNS0_9null_typeES7_S7_S7_S7_S7_S7_EENS1_3tagENS0_11use_defaultESA_EENS0_6detail16wrapped_functionINSC_23allocator_traits_detail5gozerEvEEEElLj1EEEvT0_T1_SJ_.kd
    .uniform_work_group_size: 1
    .uses_dynamic_stack: false
    .vgpr_count:     0
    .vgpr_spill_count: 0
    .wavefront_size: 32
    .workgroup_processor_mode: 1
  - .args:
      - .offset:         0
        .size:           16
        .value_kind:     by_value
      - .offset:         16
        .size:           8
        .value_kind:     by_value
      - .offset:         24
        .size:           8
        .value_kind:     by_value
    .group_segment_fixed_size: 0
    .kernarg_segment_align: 8
    .kernarg_segment_size: 32
    .language:       OpenCL C
    .language_version:
      - 2
      - 0
    .max_flat_workgroup_size: 256
    .name:           _ZN6thrust23THRUST_200600_302600_NS11hip_rocprim14__parallel_for6kernelILj256ENS1_20__uninitialized_copy7functorIPNS0_5tupleIbffNS0_9null_typeES7_S7_S7_S7_S7_S7_EENS0_7pointerIS8_NS1_3tagENS0_11use_defaultESC_EEEEmLj1EEEvT0_T1_SG_
    .private_segment_fixed_size: 0
    .sgpr_count:     18
    .sgpr_spill_count: 0
    .symbol:         _ZN6thrust23THRUST_200600_302600_NS11hip_rocprim14__parallel_for6kernelILj256ENS1_20__uninitialized_copy7functorIPNS0_5tupleIbffNS0_9null_typeES7_S7_S7_S7_S7_S7_EENS0_7pointerIS8_NS1_3tagENS0_11use_defaultESC_EEEEmLj1EEEvT0_T1_SG_.kd
    .uniform_work_group_size: 1
    .uses_dynamic_stack: false
    .vgpr_count:     8
    .vgpr_spill_count: 0
    .wavefront_size: 32
    .workgroup_processor_mode: 1
amdhsa.target:   amdgcn-amd-amdhsa--gfx1100
amdhsa.version:
  - 1
  - 2
...

	.end_amdgpu_metadata
